;; amdgpu-corpus repo=ROCm/rocFFT kind=compiled arch=gfx950 opt=O3
	.text
	.amdgcn_target "amdgcn-amd-amdhsa--gfx950"
	.amdhsa_code_object_version 6
	.protected	bluestein_single_fwd_len459_dim1_dp_op_CI_CI ; -- Begin function bluestein_single_fwd_len459_dim1_dp_op_CI_CI
	.globl	bluestein_single_fwd_len459_dim1_dp_op_CI_CI
	.p2align	8
	.type	bluestein_single_fwd_len459_dim1_dp_op_CI_CI,@function
bluestein_single_fwd_len459_dim1_dp_op_CI_CI: ; @bluestein_single_fwd_len459_dim1_dp_op_CI_CI
; %bb.0:
	s_load_dwordx4 s[8:11], s[0:1], 0x28
	v_mul_u32_u24_e32 v1, 0x506, v0
	v_lshrrev_b32_e32 v2, 16, v1
	v_mad_u64_u32 v[4:5], s[2:3], s2, 5, v[2:3]
	v_mov_b32_e32 v5, 0
	s_waitcnt lgkmcnt(0)
	v_cmp_gt_u64_e32 vcc, s[8:9], v[4:5]
	s_and_saveexec_b64 s[2:3], vcc
	s_cbranch_execz .LBB0_15
; %bb.1:
	v_mul_lo_u16_e32 v1, 51, v2
	s_mov_b32 s2, 0xcccccccd
	v_sub_u16_e32 v146, v0, v1
	v_mul_hi_u32 v0, v4, s2
	v_lshrrev_b32_e32 v0, 2, v0
	s_load_dwordx2 s[8:9], s[0:1], 0x0
	s_load_dwordx2 s[12:13], s[0:1], 0x38
	v_lshl_add_u32 v0, v0, 2, v0
	v_sub_u32_e32 v0, v4, v0
	v_mul_u32_u24_e32 v0, 0x1cb, v0
	v_accvgpr_write_b32 a3, v0
	v_lshlrev_b32_e32 v0, 4, v0
	v_accvgpr_write_b32 a0, v4
	v_cmp_gt_u16_e64 s[2:3], 27, v146
	v_lshlrev_b32_e32 v176, 4, v146
	v_accvgpr_write_b32 a1, v0
	s_and_saveexec_b64 s[14:15], s[2:3]
	s_cbranch_execz .LBB0_3
; %bb.2:
	s_load_dwordx2 s[4:5], s[0:1], 0x18
	v_accvgpr_read_b32 v10, a0
	v_mov_b32_e32 v0, s10
	v_mov_b32_e32 v1, s11
	;; [unrolled: 1-line block ×3, first 2 shown]
	s_waitcnt lgkmcnt(0)
	s_load_dwordx4 s[4:7], s[4:5], 0x0
	v_mov_b32_e32 v177, 0
	v_lshl_add_u64 v[76:77], s[8:9], 0, v[176:177]
	s_waitcnt lgkmcnt(0)
	v_mad_u64_u32 v[2:3], s[10:11], s6, v10, 0
	v_mad_u64_u32 v[4:5], s[10:11], s4, v146, 0
	v_mov_b32_e32 v6, v3
	v_mov_b32_e32 v8, v5
	v_mad_u64_u32 v[6:7], s[6:7], s7, v10, v[6:7]
	v_mov_b32_e32 v3, v6
	v_mad_u64_u32 v[6:7], s[6:7], s5, v146, v[8:9]
	v_mov_b32_e32 v5, v6
	v_lshl_add_u64 v[0:1], v[2:3], 4, v[0:1]
	v_lshl_add_u64 v[8:9], v[4:5], 4, v[0:1]
	v_mad_u64_u32 v[24:25], s[6:7], s4, v55, v[8:9]
	s_mulk_i32 s5, 0x1b0
	global_load_dwordx4 v[0:3], v[8:9], off
	global_load_dwordx4 v[4:7], v176, s[8:9]
	v_add_u32_e32 v25, s5, v25
	v_mad_u64_u32 v[52:53], s[6:7], s4, v55, v[24:25]
	v_add_u32_e32 v53, s5, v53
	global_load_dwordx4 v[8:11], v176, s[8:9] offset:432
	global_load_dwordx4 v[12:15], v176, s[8:9] offset:864
	global_load_dwordx4 v[20:23], v[24:25], off
	global_load_dwordx4 v[16:19], v[52:53], off
	v_mad_u64_u32 v[52:53], s[6:7], s4, v55, v[52:53]
	v_accvgpr_read_b32 v24, a1
	v_add_u32_e32 v53, s5, v53
	v_lshl_add_u32 v144, v146, 4, v24
	v_add_u32_e32 v54, v24, v176
	global_load_dwordx4 v[24:27], v176, s[8:9] offset:1296
	global_load_dwordx4 v[28:31], v176, s[8:9] offset:1728
	;; [unrolled: 1-line block ×7, first 2 shown]
	global_load_dwordx4 v[56:59], v[52:53], off
	v_mad_u64_u32 v[52:53], s[6:7], s4, v55, v[52:53]
	v_add_u32_e32 v53, s5, v53
	global_load_dwordx4 v[60:63], v[52:53], off
	v_mad_u64_u32 v[52:53], s[6:7], s4, v55, v[52:53]
	v_add_u32_e32 v53, s5, v53
	;; [unrolled: 3-line block ×4, first 2 shown]
	s_movk_i32 s10, 0x1000
	global_load_dwordx4 v[72:75], v[52:53], off
	v_mad_u64_u32 v[52:53], s[6:7], s4, v55, v[52:53]
	v_add_co_u32_e32 v132, vcc, s10, v76
	v_add_u32_e32 v53, s5, v53
	s_nop 0
	v_addc_co_u32_e32 v133, vcc, 0, v77, vcc
	global_load_dwordx4 v[76:79], v[52:53], off
	v_mad_u64_u32 v[52:53], s[6:7], s4, v55, v[52:53]
	v_add_u32_e32 v53, s5, v53
	global_load_dwordx4 v[80:83], v[52:53], off
	global_load_dwordx4 v[84:87], v[132:133], off offset:224
	global_load_dwordx4 v[88:91], v[132:133], off offset:656
	v_mad_u64_u32 v[52:53], s[6:7], s4, v55, v[52:53]
	v_add_u32_e32 v53, s5, v53
	global_load_dwordx4 v[92:95], v[52:53], off
	global_load_dwordx4 v[96:99], v[132:133], off offset:2816
	v_mad_u64_u32 v[52:53], s[6:7], s4, v55, v[52:53]
	v_add_u32_e32 v53, s5, v53
	global_load_dwordx4 v[100:103], v[52:53], off
	v_mad_u64_u32 v[52:53], s[6:7], s4, v55, v[52:53]
	v_add_u32_e32 v53, s5, v53
	global_load_dwordx4 v[104:107], v[52:53], off
	global_load_dwordx4 v[108:111], v[132:133], off offset:1088
	v_mad_u64_u32 v[52:53], s[6:7], s4, v55, v[52:53]
	v_add_u32_e32 v53, s5, v53
	global_load_dwordx4 v[112:115], v[52:53], off
	global_load_dwordx4 v[116:119], v[132:133], off offset:1520
	;; [unrolled: 4-line block ×3, first 2 shown]
	v_mad_u64_u32 v[52:53], s[6:7], s4, v55, v[52:53]
	v_add_u32_e32 v53, s5, v53
	global_load_dwordx4 v[128:131], v[52:53], off
	s_nop 0
	global_load_dwordx4 v[132:135], v[132:133], off offset:2384
	v_mad_u64_u32 v[52:53], s[6:7], s4, v55, v[52:53]
	v_add_u32_e32 v53, s5, v53
	global_load_dwordx4 v[140:143], v[52:53], off
	s_waitcnt vmcnt(32)
	v_mul_f64 v[136:137], v[2:3], v[6:7]
	v_mul_f64 v[6:7], v[0:1], v[6:7]
	v_fmac_f64_e32 v[136:137], v[0:1], v[4:5]
	v_fma_f64 v[138:139], v[2:3], v[4:5], -v[6:7]
	s_waitcnt vmcnt(29)
	v_mul_f64 v[0:1], v[22:23], v[10:11]
	v_mul_f64 v[2:3], v[20:21], v[10:11]
	v_fmac_f64_e32 v[0:1], v[20:21], v[8:9]
	v_fma_f64 v[2:3], v[22:23], v[8:9], -v[2:3]
	ds_write_b128 v144, v[136:139]
	ds_write_b128 v54, v[0:3] offset:432
	s_waitcnt vmcnt(28)
	v_mul_f64 v[0:1], v[18:19], v[14:15]
	v_mul_f64 v[2:3], v[16:17], v[14:15]
	v_fmac_f64_e32 v[0:1], v[16:17], v[12:13]
	v_fma_f64 v[2:3], v[18:19], v[12:13], -v[2:3]
	ds_write_b128 v54, v[0:3] offset:864
	s_waitcnt vmcnt(20)
	v_mul_f64 v[0:1], v[56:57], v[26:27]
	v_fma_f64 v[2:3], v[58:59], v[24:25], -v[0:1]
	v_mul_f64 v[0:1], v[58:59], v[26:27]
	v_fmac_f64_e32 v[0:1], v[56:57], v[24:25]
	ds_write_b128 v54, v[0:3] offset:1296
	s_waitcnt vmcnt(19)
	v_mul_f64 v[0:1], v[62:63], v[30:31]
	v_mul_f64 v[2:3], v[60:61], v[30:31]
	v_fmac_f64_e32 v[0:1], v[60:61], v[28:29]
	v_fma_f64 v[2:3], v[62:63], v[28:29], -v[2:3]
	ds_write_b128 v54, v[0:3] offset:1728
	s_waitcnt vmcnt(18)
	v_mul_f64 v[0:1], v[66:67], v[34:35]
	v_mul_f64 v[2:3], v[64:65], v[34:35]
	v_fmac_f64_e32 v[0:1], v[64:65], v[32:33]
	v_fma_f64 v[2:3], v[66:67], v[32:33], -v[2:3]
	;; [unrolled: 6-line block ×13, first 2 shown]
	ds_write_b128 v54, v[0:3] offset:6912
.LBB0_3:
	s_or_b64 exec, exec, s[14:15]
	s_load_dwordx2 s[4:5], s[0:1], 0x20
	s_load_dwordx2 s[10:11], s[0:1], 0x8
	v_accvgpr_write_b32 a2, v146
	s_waitcnt lgkmcnt(0)
	s_barrier
	s_waitcnt lgkmcnt(0)
                                        ; implicit-def: $vgpr32_vgpr33
                                        ; implicit-def: $vgpr36_vgpr37
                                        ; implicit-def: $vgpr40_vgpr41
                                        ; implicit-def: $vgpr44_vgpr45
                                        ; implicit-def: $vgpr48_vgpr49
                                        ; implicit-def: $vgpr52_vgpr53
                                        ; implicit-def: $vgpr56_vgpr57
                                        ; implicit-def: $vgpr60_vgpr61
                                        ; implicit-def: $vgpr64_vgpr65
                                        ; implicit-def: $vgpr68_vgpr69
                                        ; implicit-def: $vgpr72_vgpr73
                                        ; implicit-def: $vgpr76_vgpr77
                                        ; implicit-def: $vgpr80_vgpr81
                                        ; implicit-def: $vgpr84_vgpr85
                                        ; implicit-def: $vgpr88_vgpr89
                                        ; implicit-def: $vgpr92_vgpr93
                                        ; implicit-def: $vgpr96_vgpr97
	s_and_saveexec_b64 s[0:1], s[2:3]
	s_cbranch_execz .LBB0_5
; %bb.4:
	v_accvgpr_read_b32 v0, a3
	v_lshl_add_u32 v0, v0, 4, v176
	ds_read_b128 v[32:35], v0
	ds_read_b128 v[36:39], v0 offset:432
	ds_read_b128 v[40:43], v0 offset:864
	;; [unrolled: 1-line block ×16, first 2 shown]
.LBB0_5:
	s_or_b64 exec, exec, s[0:1]
	s_mov_b32 s26, 0x5d8e7cdc
	s_waitcnt lgkmcnt(0)
	v_add_f64 v[30:31], v[38:39], -v[98:99]
	s_mov_b32 s27, 0xbfd71e95
	s_mov_b32 s30, 0x2a9d6da3
	v_add_f64 v[28:29], v[36:37], -v[96:97]
	s_mov_b32 s0, 0x370991
	v_mul_f64 v[0:1], v[30:31], s[26:27]
	s_mov_b32 s31, 0xbfe58eea
	v_add_f64 v[102:103], v[42:43], -v[94:95]
	v_add_f64 v[128:129], v[36:37], v[96:97]
	s_mov_b32 s1, 0x3fedd6d0
	v_mul_f64 v[2:3], v[28:29], s[26:27]
	v_accvgpr_write_b32 a37, v1
	s_mov_b32 s16, 0x75d4884
	v_mul_f64 v[4:5], v[102:103], s[30:31]
	v_add_f64 v[130:131], v[38:39], v[98:99]
	v_accvgpr_write_b32 a36, v0
	v_fma_f64 v[0:1], s[0:1], v[128:129], v[0:1]
	v_accvgpr_write_b32 a39, v3
	s_mov_b32 s17, 0x3fe7a5f6
	v_add_f64 v[140:141], v[40:41], v[92:93]
	v_add_f64 v[100:101], v[40:41], -v[92:93]
	v_accvgpr_write_b32 a41, v5
	v_add_f64 v[0:1], v[32:33], v[0:1]
	v_accvgpr_write_b32 a38, v2
	v_fma_f64 v[2:3], v[130:131], s[0:1], -v[2:3]
	s_mov_b32 s36, 0x7c9e640b
	v_add_f64 v[142:143], v[42:43], v[94:95]
	v_mul_f64 v[6:7], v[100:101], s[30:31]
	v_accvgpr_write_b32 a40, v4
	v_fma_f64 v[4:5], s[16:17], v[140:141], v[4:5]
	v_add_f64 v[2:3], v[34:35], v[2:3]
	s_mov_b32 s37, 0xbfeca52d
	v_add_f64 v[0:1], v[4:5], v[0:1]
	v_fma_f64 v[4:5], v[142:143], s[16:17], -v[6:7]
	v_add_f64 v[106:107], v[46:47], -v[90:91]
	s_mov_b32 s6, 0x2b2883cd
	v_add_f64 v[2:3], v[4:5], v[2:3]
	v_mul_f64 v[4:5], v[106:107], s[36:37]
	s_mov_b32 s7, 0x3fdc86fa
	v_accvgpr_write_b32 a43, v7
	v_add_f64 v[148:149], v[44:45], v[88:89]
	v_add_f64 v[104:105], v[44:45], -v[88:89]
	v_accvgpr_write_b32 a45, v5
	s_mov_b32 s34, 0xeb564b22
	v_accvgpr_write_b32 a42, v6
	v_add_f64 v[150:151], v[46:47], v[90:91]
	v_mul_f64 v[6:7], v[104:105], s[36:37]
	v_accvgpr_write_b32 a44, v4
	v_fma_f64 v[4:5], s[6:7], v[148:149], v[4:5]
	s_mov_b32 s35, 0xbfefdd0d
	v_add_f64 v[0:1], v[4:5], v[0:1]
	v_fma_f64 v[4:5], v[150:151], s[6:7], -v[6:7]
	v_add_f64 v[110:111], v[50:51], -v[86:87]
	s_mov_b32 s18, 0x3259b75e
	v_add_f64 v[2:3], v[4:5], v[2:3]
	v_mul_f64 v[4:5], v[110:111], s[34:35]
	s_mov_b32 s19, 0x3fb79ee6
	v_accvgpr_write_b32 a47, v7
	v_add_f64 v[154:155], v[48:49], v[84:85]
	v_add_f64 v[108:109], v[48:49], -v[84:85]
	v_accvgpr_write_b32 a49, v5
	s_mov_b32 s28, 0x923c349f
	v_accvgpr_write_b32 a46, v6
	v_add_f64 v[156:157], v[50:51], v[86:87]
	v_mul_f64 v[6:7], v[108:109], s[34:35]
	v_accvgpr_write_b32 a48, v4
	v_fma_f64 v[4:5], s[18:19], v[154:155], v[4:5]
	s_mov_b32 s29, 0xbfeec746
	v_add_f64 v[0:1], v[4:5], v[0:1]
	v_fma_f64 v[4:5], v[156:157], s[18:19], -v[6:7]
	v_add_f64 v[166:167], v[54:55], -v[82:83]
	s_mov_b32 s14, 0xc61f0d01
	v_add_f64 v[2:3], v[4:5], v[2:3]
	v_mul_f64 v[4:5], v[166:167], s[28:29]
	s_mov_b32 s15, 0xbfd183b1
	v_add_f64 v[160:161], v[52:53], v[80:81]
	v_accvgpr_write_b32 a53, v5
	v_accvgpr_write_b32 a52, v4
	v_fma_f64 v[4:5], s[14:15], v[160:161], v[4:5]
	v_add_f64 v[172:173], v[52:53], -v[80:81]
	v_add_f64 v[0:1], v[4:5], v[0:1]
	v_mul_f64 v[4:5], v[172:173], s[28:29]
	v_add_f64 v[162:163], v[54:55], v[82:83]
	v_accvgpr_write_b32 a55, v5
	s_mov_b32 s38, 0x6c9a05f6
	v_accvgpr_write_b32 a54, v4
	v_fma_f64 v[4:5], v[162:163], s[14:15], -v[4:5]
	s_mov_b32 s39, 0xbfe9895b
	v_add_f64 v[208:209], v[58:59], -v[78:79]
	v_add_f64 v[2:3], v[4:5], v[2:3]
	s_mov_b32 s20, 0x6ed5f1bb
	v_mul_f64 v[4:5], v[208:209], s[38:39]
	s_mov_b32 s21, 0xbfe348c8
	v_add_f64 v[168:169], v[56:57], v[76:77]
	v_accvgpr_write_b32 a57, v5
	v_accvgpr_write_b32 a56, v4
	v_fma_f64 v[4:5], s[20:21], v[168:169], v[4:5]
	v_add_f64 v[212:213], v[56:57], -v[76:77]
	v_add_f64 v[0:1], v[4:5], v[0:1]
	v_mul_f64 v[4:5], v[212:213], s[38:39]
	v_add_f64 v[170:171], v[58:59], v[78:79]
	v_accvgpr_write_b32 a59, v5
	s_mov_b32 s40, 0x4363dd80
	v_accvgpr_write_b32 a58, v4
	v_fma_f64 v[4:5], v[170:171], s[20:21], -v[4:5]
	s_mov_b32 s41, 0xbfe0d888
	v_add_f64 v[224:225], v[62:63], -v[74:75]
	v_add_f64 v[2:3], v[4:5], v[2:3]
	s_mov_b32 s22, 0x910ea3b9
	;; [unrolled: 18-line block ×3, first 2 shown]
	v_mul_f64 v[4:5], v[232:233], s[42:43]
	s_mov_b32 s25, 0xbfef7484
	v_add_f64 v[196:197], v[64:65], v[68:69]
	v_accvgpr_write_b32 a65, v5
	v_accvgpr_write_b32 a64, v4
	v_fma_f64 v[4:5], s[24:25], v[196:197], v[4:5]
	v_add_f64 v[18:19], v[64:65], -v[68:69]
	v_add_f64 v[4:5], v[4:5], v[0:1]
	v_mul_f64 v[0:1], v[18:19], s[42:43]
	v_add_f64 v[204:205], v[66:67], v[70:71]
	v_accvgpr_write_b32 a67, v1
	v_accvgpr_write_b32 a51, v7
	;; [unrolled: 1-line block ×3, first 2 shown]
	v_fma_f64 v[0:1], v[204:205], s[24:25], -v[0:1]
	v_accvgpr_write_b32 a50, v6
	v_add_f64 v[6:7], v[0:1], v[2:3]
	v_mul_f64 v[0:1], v[30:31], s[30:31]
	v_accvgpr_write_b32 a69, v1
	v_mul_f64 v[2:3], v[102:103], s[34:35]
	v_accvgpr_write_b32 a68, v0
	v_fma_f64 v[0:1], s[16:17], v[128:129], v[0:1]
	v_accvgpr_write_b32 a71, v3
	v_add_f64 v[0:1], v[32:33], v[0:1]
	v_accvgpr_write_b32 a70, v2
	v_fma_f64 v[2:3], s[18:19], v[140:141], v[2:3]
	v_accvgpr_write_b32 a4, v4
	v_add_f64 v[0:1], v[2:3], v[0:1]
	v_mul_f64 v[2:3], v[28:29], s[30:31]
	v_accvgpr_write_b32 a5, v5
	v_accvgpr_write_b32 a6, v6
	;; [unrolled: 1-line block ×4, first 2 shown]
	v_mul_f64 v[4:5], v[100:101], s[34:35]
	v_accvgpr_write_b32 a76, v2
	v_fma_f64 v[2:3], v[130:131], s[16:17], -v[2:3]
	v_accvgpr_write_b32 a79, v5
	v_add_f64 v[2:3], v[34:35], v[2:3]
	v_accvgpr_write_b32 a78, v4
	v_fma_f64 v[4:5], v[142:143], s[18:19], -v[4:5]
	v_add_f64 v[2:3], v[4:5], v[2:3]
	v_mul_f64 v[4:5], v[106:107], s[38:39]
	v_accvgpr_write_b32 a73, v5
	v_accvgpr_write_b32 a72, v4
	v_fma_f64 v[4:5], s[20:21], v[148:149], v[4:5]
	v_add_f64 v[0:1], v[4:5], v[0:1]
	v_mul_f64 v[4:5], v[104:105], s[38:39]
	v_accvgpr_write_b32 a83, v5
	v_accvgpr_write_b32 a82, v4
	v_fma_f64 v[4:5], v[150:151], s[20:21], -v[4:5]
	v_add_f64 v[2:3], v[4:5], v[2:3]
	v_mul_f64 v[4:5], v[110:111], s[42:43]
	v_accvgpr_write_b32 a75, v5
	v_accvgpr_write_b32 a74, v4
	v_fma_f64 v[4:5], s[24:25], v[154:155], v[4:5]
	v_add_f64 v[0:1], v[4:5], v[0:1]
	v_mul_f64 v[4:5], v[108:109], s[42:43]
	v_accvgpr_write_b32 a87, v5
	v_accvgpr_write_b32 a86, v4
	v_fma_f64 v[4:5], v[156:157], s[24:25], -v[4:5]
	s_mov_b32 s53, 0x3fe0d888
	s_mov_b32 s52, s40
	v_add_f64 v[2:3], v[4:5], v[2:3]
	v_mul_f64 v[4:5], v[166:167], s[52:53]
	v_accvgpr_write_b32 a81, v5
	v_accvgpr_write_b32 a80, v4
	v_fma_f64 v[4:5], s[22:23], v[160:161], v[4:5]
	v_add_f64 v[0:1], v[4:5], v[0:1]
	v_mul_f64 v[4:5], v[172:173], s[52:53]
	v_accvgpr_write_b32 a91, v5
	v_accvgpr_write_b32 a90, v4
	v_fma_f64 v[4:5], v[162:163], s[22:23], -v[4:5]
	s_mov_b32 s51, 0x3feec746
	s_mov_b32 s50, s28
	;; [unrolled: 12-line block ×4, first 2 shown]
	v_add_f64 v[2:3], v[4:5], v[2:3]
	v_mul_f64 v[4:5], v[232:233], s[46:47]
	v_accvgpr_write_b32 a93, v5
	v_accvgpr_write_b32 a92, v4
	v_fma_f64 v[4:5], s[0:1], v[196:197], v[4:5]
	v_add_f64 v[4:5], v[4:5], v[0:1]
	v_mul_f64 v[0:1], v[18:19], s[46:47]
	v_accvgpr_write_b32 a99, v1
	v_accvgpr_write_b32 a98, v0
	v_fma_f64 v[0:1], v[204:205], s[0:1], -v[0:1]
	v_add_f64 v[6:7], v[0:1], v[2:3]
	v_mul_f64 v[0:1], v[30:31], s[36:37]
	v_accvgpr_write_b32 a101, v1
	v_mul_f64 v[2:3], v[102:103], s[38:39]
	v_accvgpr_write_b32 a100, v0
	v_fma_f64 v[0:1], s[6:7], v[128:129], v[0:1]
	v_accvgpr_write_b32 a103, v3
	v_add_f64 v[0:1], v[32:33], v[0:1]
	v_accvgpr_write_b32 a102, v2
	v_fma_f64 v[2:3], s[20:21], v[140:141], v[2:3]
	v_accvgpr_write_b32 a11, v7
	v_add_f64 v[0:1], v[2:3], v[0:1]
	v_mul_f64 v[2:3], v[28:29], s[36:37]
	v_accvgpr_write_b32 a10, v6
	v_accvgpr_write_b32 a9, v5
	;; [unrolled: 1-line block ×4, first 2 shown]
	v_mul_f64 v[4:5], v[100:101], s[38:39]
	v_accvgpr_write_b32 a114, v2
	v_fma_f64 v[2:3], v[130:131], s[6:7], -v[2:3]
	v_accvgpr_write_b32 a117, v5
	v_add_f64 v[2:3], v[34:35], v[2:3]
	v_accvgpr_write_b32 a116, v4
	v_fma_f64 v[4:5], v[142:143], s[20:21], -v[4:5]
	s_mov_b32 s49, 0x3fc7851a
	s_mov_b32 s48, s42
	v_add_f64 v[2:3], v[4:5], v[2:3]
	v_mul_f64 v[4:5], v[106:107], s[48:49]
	v_accvgpr_write_b32 a105, v5
	v_accvgpr_write_b32 a104, v4
	v_fma_f64 v[4:5], s[24:25], v[148:149], v[4:5]
	v_add_f64 v[0:1], v[4:5], v[0:1]
	v_mul_f64 v[4:5], v[104:105], s[48:49]
	v_accvgpr_write_b32 a121, v5
	v_accvgpr_write_b32 a120, v4
	v_fma_f64 v[4:5], v[150:151], s[24:25], -v[4:5]
	v_add_f64 v[2:3], v[4:5], v[2:3]
	v_mul_f64 v[4:5], v[110:111], s[50:51]
	v_accvgpr_write_b32 a107, v5
	v_accvgpr_write_b32 a106, v4
	v_fma_f64 v[4:5], s[14:15], v[154:155], v[4:5]
	v_add_f64 v[0:1], v[4:5], v[0:1]
	v_mul_f64 v[4:5], v[108:109], s[50:51]
	v_accvgpr_write_b32 a123, v5
	v_accvgpr_write_b32 a122, v4
	v_fma_f64 v[4:5], v[156:157], s[14:15], -v[4:5]
	s_mov_b32 s49, 0x3fe58eea
	s_mov_b32 s48, s30
	v_add_f64 v[2:3], v[4:5], v[2:3]
	v_mul_f64 v[4:5], v[166:167], s[48:49]
	v_accvgpr_write_b32 a109, v5
	v_accvgpr_write_b32 a108, v4
	v_fma_f64 v[4:5], s[16:17], v[160:161], v[4:5]
	v_add_f64 v[0:1], v[4:5], v[0:1]
	v_mul_f64 v[4:5], v[172:173], s[48:49]
	v_accvgpr_write_b32 a125, v5
	v_accvgpr_write_b32 a124, v4
	v_fma_f64 v[4:5], v[162:163], s[16:17], -v[4:5]
	v_add_f64 v[2:3], v[4:5], v[2:3]
	v_mul_f64 v[4:5], v[208:209], s[26:27]
	v_accvgpr_write_b32 a111, v5
	v_accvgpr_write_b32 a110, v4
	v_fma_f64 v[4:5], s[0:1], v[168:169], v[4:5]
	v_add_f64 v[0:1], v[4:5], v[0:1]
	v_mul_f64 v[4:5], v[212:213], s[26:27]
	v_accvgpr_write_b32 a127, v5
	v_accvgpr_write_b32 a126, v4
	v_fma_f64 v[4:5], v[170:171], s[0:1], -v[4:5]
	v_add_f64 v[2:3], v[4:5], v[2:3]
	v_mul_f64 v[4:5], v[224:225], s[34:35]
	v_accvgpr_write_b32 a113, v5
	v_accvgpr_write_b32 a112, v4
	v_fma_f64 v[4:5], s[18:19], v[174:175], v[4:5]
	v_add_f64 v[0:1], v[4:5], v[0:1]
	v_mul_f64 v[4:5], v[226:227], s[34:35]
	v_accvgpr_write_b32 a129, v5
	v_accvgpr_write_b32 a128, v4
	v_fma_f64 v[4:5], v[184:185], s[18:19], -v[4:5]
	v_add_f64 v[2:3], v[4:5], v[2:3]
	v_mul_f64 v[4:5], v[232:233], s[40:41]
	v_accvgpr_write_b32 a119, v5
	v_accvgpr_write_b32 a118, v4
	v_fma_f64 v[4:5], s[22:23], v[196:197], v[4:5]
	v_add_f64 v[4:5], v[4:5], v[0:1]
	v_mul_f64 v[0:1], v[18:19], s[40:41]
	v_accvgpr_write_b32 a131, v1
	v_accvgpr_write_b32 a130, v0
	v_fma_f64 v[0:1], v[204:205], s[22:23], -v[0:1]
	v_add_f64 v[6:7], v[0:1], v[2:3]
	v_mul_f64 v[0:1], v[30:31], s[34:35]
	v_accvgpr_write_b32 a133, v1
	v_mul_f64 v[2:3], v[102:103], s[42:43]
	v_accvgpr_write_b32 a132, v0
	v_fma_f64 v[0:1], s[18:19], v[128:129], v[0:1]
	v_accvgpr_write_b32 a135, v3
	v_add_f64 v[0:1], v[32:33], v[0:1]
	v_accvgpr_write_b32 a134, v2
	v_fma_f64 v[2:3], s[24:25], v[140:141], v[2:3]
	v_accvgpr_write_b32 a15, v7
	v_add_f64 v[0:1], v[2:3], v[0:1]
	v_mul_f64 v[2:3], v[28:29], s[34:35]
	v_accvgpr_write_b32 a14, v6
	v_accvgpr_write_b32 a13, v5
	;; [unrolled: 1-line block ×4, first 2 shown]
	v_mul_f64 v[4:5], v[100:101], s[42:43]
	v_accvgpr_write_b32 a140, v2
	v_fma_f64 v[2:3], v[130:131], s[18:19], -v[2:3]
	v_accvgpr_write_b32 a145, v5
	v_add_f64 v[2:3], v[34:35], v[2:3]
	v_accvgpr_write_b32 a144, v4
	v_fma_f64 v[4:5], v[142:143], s[24:25], -v[4:5]
	v_add_f64 v[2:3], v[4:5], v[2:3]
	v_mul_f64 v[4:5], v[106:107], s[50:51]
	v_accvgpr_write_b32 a137, v5
	v_accvgpr_write_b32 a136, v4
	v_fma_f64 v[4:5], s[14:15], v[148:149], v[4:5]
	v_add_f64 v[0:1], v[4:5], v[0:1]
	v_mul_f64 v[4:5], v[104:105], s[50:51]
	v_accvgpr_write_b32 a149, v5
	v_accvgpr_write_b32 a148, v4
	v_fma_f64 v[4:5], v[150:151], s[14:15], -v[4:5]
	v_add_f64 v[2:3], v[4:5], v[2:3]
	v_mul_f64 v[4:5], v[110:111], s[46:47]
	v_accvgpr_write_b32 a139, v5
	v_accvgpr_write_b32 a138, v4
	v_fma_f64 v[4:5], s[0:1], v[154:155], v[4:5]
	v_mul_f64 v[138:139], v[108:109], s[46:47]
	v_add_f64 v[0:1], v[4:5], v[0:1]
	v_fma_f64 v[4:5], v[156:157], s[0:1], -v[138:139]
	v_add_f64 v[2:3], v[4:5], v[2:3]
	v_mul_f64 v[4:5], v[166:167], s[36:37]
	v_accvgpr_write_b32 a143, v5
	v_accvgpr_write_b32 a142, v4
	v_fma_f64 v[4:5], s[6:7], v[160:161], v[4:5]
	v_mul_f64 v[144:145], v[172:173], s[36:37]
	v_add_f64 v[0:1], v[4:5], v[0:1]
	v_fma_f64 v[4:5], v[162:163], s[6:7], -v[144:145]
	v_add_f64 v[2:3], v[4:5], v[2:3]
	v_mul_f64 v[4:5], v[208:209], s[40:41]
	v_accvgpr_write_b32 a147, v5
	v_accvgpr_write_b32 a146, v4
	v_fma_f64 v[4:5], s[22:23], v[168:169], v[4:5]
	v_mul_f64 v[146:147], v[212:213], s[40:41]
	s_mov_b32 s55, 0x3fe9895b
	s_mov_b32 s54, s38
	v_add_f64 v[0:1], v[4:5], v[0:1]
	v_fma_f64 v[4:5], v[170:171], s[22:23], -v[146:147]
	v_mul_f64 v[136:137], v[224:225], s[54:55]
	v_add_f64 v[2:3], v[4:5], v[2:3]
	v_fma_f64 v[4:5], s[20:21], v[174:175], v[136:137]
	v_mul_f64 v[152:153], v[226:227], s[54:55]
	v_add_f64 v[0:1], v[4:5], v[0:1]
	v_fma_f64 v[4:5], v[184:185], s[20:21], -v[152:153]
	v_mul_f64 v[180:181], v[232:233], s[48:49]
	v_add_f64 v[2:3], v[4:5], v[2:3]
	v_fma_f64 v[4:5], s[16:17], v[196:197], v[180:181]
	v_mul_f64 v[158:159], v[18:19], s[48:49]
	;; [unrolled: 6-line block ×3, first 2 shown]
	v_add_f64 v[0:1], v[32:33], v[0:1]
	v_fma_f64 v[2:3], s[22:23], v[140:141], v[114:115]
	v_mul_f64 v[186:187], v[28:29], s[28:29]
	v_accvgpr_write_b32 a19, v7
	v_add_f64 v[0:1], v[2:3], v[0:1]
	v_fma_f64 v[2:3], v[130:131], s[14:15], -v[186:187]
	v_mul_f64 v[190:191], v[100:101], s[52:53]
	v_accvgpr_write_b32 a18, v6
	v_accvgpr_write_b32 a17, v5
	;; [unrolled: 1-line block ×3, first 2 shown]
	v_add_f64 v[2:3], v[34:35], v[2:3]
	v_fma_f64 v[4:5], v[142:143], s[22:23], -v[190:191]
	v_mul_f64 v[164:165], v[106:107], s[48:49]
	v_add_f64 v[2:3], v[4:5], v[2:3]
	v_fma_f64 v[4:5], s[16:17], v[148:149], v[164:165]
	v_mul_f64 v[194:195], v[104:105], s[48:49]
	v_add_f64 v[0:1], v[4:5], v[0:1]
	v_fma_f64 v[4:5], v[150:151], s[16:17], -v[194:195]
	v_mul_f64 v[182:183], v[110:111], s[36:37]
	v_add_f64 v[2:3], v[4:5], v[2:3]
	v_fma_f64 v[4:5], s[6:7], v[154:155], v[182:183]
	v_mul_f64 v[200:201], v[108:109], s[36:37]
	;; [unrolled: 6-line block ×3, first 2 shown]
	s_mov_b32 s37, 0x3fefdd0d
	s_mov_b32 s36, s34
	v_add_f64 v[0:1], v[4:5], v[0:1]
	v_fma_f64 v[4:5], v[162:163], s[24:25], -v[206:207]
	v_mul_f64 v[192:193], v[208:209], s[36:37]
	v_add_f64 v[2:3], v[4:5], v[2:3]
	v_fma_f64 v[4:5], s[18:19], v[168:169], v[192:193]
	v_mul_f64 v[210:211], v[212:213], s[36:37]
	v_add_f64 v[0:1], v[4:5], v[0:1]
	v_fma_f64 v[4:5], v[170:171], s[18:19], -v[210:211]
	v_mul_f64 v[198:199], v[224:225], s[26:27]
	v_add_f64 v[2:3], v[4:5], v[2:3]
	v_fma_f64 v[4:5], s[0:1], v[174:175], v[198:199]
	v_mul_f64 v[214:215], v[226:227], s[26:27]
	;; [unrolled: 6-line block ×4, first 2 shown]
	v_add_f64 v[0:1], v[32:33], v[0:1]
	v_fma_f64 v[2:3], s[14:15], v[140:141], v[220:221]
	v_accvgpr_write_b32 a23, v7
	v_add_f64 v[0:1], v[2:3], v[0:1]
	v_mul_f64 v[2:3], v[28:29], s[38:39]
	v_accvgpr_write_b32 a22, v6
	v_accvgpr_write_b32 a21, v5
	;; [unrolled: 1-line block ×3, first 2 shown]
	v_fma_f64 v[4:5], v[130:131], s[20:21], -v[2:3]
	v_add_f64 v[6:7], v[34:35], v[4:5]
	v_mul_f64 v[4:5], v[100:101], s[50:51]
	v_fma_f64 v[8:9], v[142:143], s[14:15], -v[4:5]
	v_mul_f64 v[222:223], v[106:107], s[26:27]
	v_add_f64 v[6:7], v[8:9], v[6:7]
	v_fma_f64 v[8:9], s[0:1], v[148:149], v[222:223]
	v_mul_f64 v[230:231], v[104:105], s[26:27]
	v_add_f64 v[8:9], v[8:9], v[0:1]
	v_fma_f64 v[0:1], v[150:151], s[0:1], -v[230:231]
	v_add_f64 v[6:7], v[0:1], v[6:7]
	v_mul_f64 v[0:1], v[110:111], s[40:41]
	v_fma_f64 v[10:11], s[22:23], v[154:155], v[0:1]
	v_add_f64 v[8:9], v[10:11], v[8:9]
	v_mul_f64 v[10:11], v[108:109], s[40:41]
	v_fma_f64 v[12:13], v[156:157], s[22:23], -v[10:11]
	v_mul_f64 v[228:229], v[166:167], s[36:37]
	v_add_f64 v[6:7], v[12:13], v[6:7]
	v_fma_f64 v[12:13], s[18:19], v[160:161], v[228:229]
	v_mul_f64 v[14:15], v[172:173], s[36:37]
	v_add_f64 v[8:9], v[12:13], v[8:9]
	v_fma_f64 v[12:13], v[162:163], s[18:19], -v[14:15]
	v_add_f64 v[12:13], v[12:13], v[6:7]
	v_mul_f64 v[6:7], v[208:209], s[30:31]
	v_fma_f64 v[16:17], s[16:17], v[168:169], v[6:7]
	v_add_f64 v[20:21], v[16:17], v[8:9]
	v_mul_f64 v[16:17], v[212:213], s[30:31]
	v_fma_f64 v[8:9], v[170:171], s[16:17], -v[16:17]
	v_add_f64 v[12:13], v[8:9], v[12:13]
	v_mul_f64 v[8:9], v[224:225], s[42:43]
	v_fma_f64 v[22:23], s[24:25], v[174:175], v[8:9]
	v_mul_f64 v[234:235], v[226:227], s[42:43]
	v_add_f64 v[20:21], v[22:23], v[20:21]
	v_fma_f64 v[22:23], v[184:185], s[24:25], -v[234:235]
	v_add_f64 v[22:23], v[22:23], v[12:13]
	v_mul_f64 v[12:13], v[232:233], s[44:45]
	v_fma_f64 v[24:25], s[6:7], v[196:197], v[12:13]
	v_mul_f64 v[236:237], v[18:19], s[44:45]
	v_add_f64 v[24:25], v[24:25], v[20:21]
	v_fma_f64 v[20:21], v[204:205], s[6:7], -v[236:237]
	v_add_f64 v[26:27], v[20:21], v[22:23]
	v_mul_f64 v[20:21], v[30:31], s[40:41]
	v_accvgpr_write_b32 a24, v24
	v_fma_f64 v[22:23], s[22:23], v[128:129], v[20:21]
	v_accvgpr_write_b32 a25, v25
	v_accvgpr_write_b32 a26, v26
	;; [unrolled: 1-line block ×3, first 2 shown]
	v_add_f64 v[24:25], v[32:33], v[22:23]
	v_mul_f64 v[22:23], v[102:103], s[44:45]
	v_fma_f64 v[26:27], s[6:7], v[140:141], v[22:23]
	v_add_f64 v[26:27], v[26:27], v[24:25]
	v_mul_f64 v[24:25], v[28:29], s[40:41]
	v_fma_f64 v[116:117], v[130:131], s[22:23], -v[24:25]
	v_mul_f64 v[242:243], v[100:101], s[44:45]
	v_add_f64 v[116:117], v[34:35], v[116:117]
	v_fma_f64 v[118:119], v[142:143], s[6:7], -v[242:243]
	v_mul_f64 v[238:239], v[106:107], s[34:35]
	v_add_f64 v[116:117], v[118:119], v[116:117]
	v_fma_f64 v[118:119], s[18:19], v[148:149], v[238:239]
	v_mul_f64 v[178:179], v[104:105], s[34:35]
	v_add_f64 v[26:27], v[118:119], v[26:27]
	v_fma_f64 v[118:119], v[150:151], s[18:19], -v[178:179]
	v_mul_f64 v[240:241], v[110:111], s[54:55]
	v_add_f64 v[116:117], v[118:119], v[116:117]
	v_fma_f64 v[118:119], s[20:21], v[154:155], v[240:241]
	v_mul_f64 v[248:249], v[108:109], s[54:55]
	v_add_f64 v[118:119], v[118:119], v[26:27]
	v_fma_f64 v[26:27], v[156:157], s[20:21], -v[248:249]
	v_add_f64 v[116:117], v[26:27], v[116:117]
	v_mul_f64 v[26:27], v[166:167], s[26:27]
	v_fma_f64 v[120:121], s[0:1], v[160:161], v[26:27]
	v_mul_f64 v[252:253], v[172:173], s[26:27]
	v_add_f64 v[118:119], v[120:121], v[118:119]
	v_fma_f64 v[120:121], v[162:163], s[0:1], -v[252:253]
	v_mul_f64 v[244:245], v[208:209], s[42:43]
	v_add_f64 v[120:121], v[120:121], v[116:117]
	v_fma_f64 v[116:117], s[24:25], v[168:169], v[244:245]
	v_add_f64 v[118:119], v[116:117], v[118:119]
	v_mul_f64 v[116:117], v[212:213], s[42:43]
	v_fma_f64 v[122:123], v[170:171], s[24:25], -v[116:117]
	v_mul_f64 v[246:247], v[224:225], s[48:49]
	v_add_f64 v[120:121], v[122:123], v[120:121]
	v_fma_f64 v[122:123], s[16:17], v[174:175], v[246:247]
	v_add_f64 v[122:123], v[122:123], v[118:119]
	v_mul_f64 v[118:119], v[226:227], s[48:49]
	v_fma_f64 v[124:125], v[184:185], s[16:17], -v[118:119]
	v_mul_f64 v[250:251], v[232:233], s[28:29]
	v_add_f64 v[120:121], v[124:125], v[120:121]
	v_fma_f64 v[124:125], s[14:15], v[196:197], v[250:251]
	v_mul_f64 v[254:255], v[18:19], s[28:29]
	v_add_f64 v[124:125], v[124:125], v[122:123]
	v_fma_f64 v[122:123], v[204:205], s[14:15], -v[254:255]
	v_mul_f64 v[30:31], v[30:31], s[42:43]
	v_add_f64 v[126:127], v[122:123], v[120:121]
	v_fma_f64 v[120:121], s[24:25], v[128:129], v[30:31]
	v_mul_f64 v[102:103], v[102:103], s[46:47]
	v_accvgpr_write_b32 a28, v124
	v_add_f64 v[120:121], v[32:33], v[120:121]
	v_fma_f64 v[122:123], s[0:1], v[140:141], v[102:103]
	v_accvgpr_write_b32 a29, v125
	v_accvgpr_write_b32 a30, v126
	;; [unrolled: 1-line block ×3, first 2 shown]
	v_add_f64 v[124:125], v[122:123], v[120:121]
	v_mul_f64 v[120:121], v[28:29], s[42:43]
	v_fma_f64 v[28:29], v[130:131], s[24:25], -v[120:121]
	v_mul_f64 v[122:123], v[100:101], s[46:47]
	v_add_f64 v[28:29], v[34:35], v[28:29]
	v_fma_f64 v[100:101], v[142:143], s[0:1], -v[122:123]
	v_add_f64 v[100:101], v[100:101], v[28:29]
	v_mul_f64 v[28:29], v[106:107], s[40:41]
	v_fma_f64 v[106:107], s[22:23], v[148:149], v[28:29]
	v_add_f64 v[106:107], v[106:107], v[124:125]
	v_mul_f64 v[124:125], v[104:105], s[40:41]
	v_fma_f64 v[104:105], v[150:151], s[22:23], -v[124:125]
	v_add_f64 v[104:105], v[104:105], v[100:101]
	v_mul_f64 v[100:101], v[110:111], s[48:49]
	v_fma_f64 v[110:111], s[16:17], v[154:155], v[100:101]
	v_add_f64 v[106:107], v[110:111], v[106:107]
	v_mul_f64 v[110:111], v[108:109], s[48:49]
	v_fma_f64 v[108:109], v[156:157], s[16:17], -v[110:111]
	v_add_f64 v[108:109], v[108:109], v[104:105]
	v_mul_f64 v[104:105], v[166:167], s[38:39]
	v_fma_f64 v[166:167], s[20:21], v[160:161], v[104:105]
	v_mul_f64 v[172:173], v[172:173], s[38:39]
	v_add_f64 v[166:167], v[166:167], v[106:107]
	v_fma_f64 v[106:107], v[162:163], s[20:21], -v[172:173]
	v_add_f64 v[108:109], v[106:107], v[108:109]
	v_mul_f64 v[106:107], v[208:209], s[44:45]
	v_fma_f64 v[208:209], s[6:7], v[168:169], v[106:107]
	v_add_f64 v[166:167], v[208:209], v[166:167]
	v_mul_f64 v[208:209], v[212:213], s[44:45]
	v_fma_f64 v[212:213], v[170:171], s[6:7], -v[208:209]
	v_add_f64 v[126:127], v[212:213], v[108:109]
	v_mul_f64 v[108:109], v[224:225], s[28:29]
	v_fma_f64 v[212:213], s[14:15], v[174:175], v[108:109]
	v_add_f64 v[224:225], v[212:213], v[166:167]
	v_mul_f64 v[212:213], v[226:227], s[28:29]
	v_fma_f64 v[166:167], v[184:185], s[14:15], -v[212:213]
	v_add_f64 v[126:127], v[166:167], v[126:127]
	v_mul_f64 v[166:167], v[232:233], s[36:37]
	v_mul_f64 v[18:19], v[18:19], s[36:37]
	v_fma_f64 v[226:227], s[18:19], v[196:197], v[166:167]
	v_add_f64 v[132:133], v[226:227], v[224:225]
	v_fma_f64 v[224:225], v[204:205], s[18:19], -v[18:19]
	v_add_f64 v[134:135], v[224:225], v[126:127]
	v_accvgpr_write_b32 a32, v132
	v_accvgpr_read_b32 v224, a2
	v_accvgpr_write_b32 a33, v133
	v_accvgpr_write_b32 a34, v134
	;; [unrolled: 1-line block ×3, first 2 shown]
	v_mul_lo_u16_e32 v177, 17, v224
	s_barrier
	s_and_saveexec_b64 s[26:27], s[2:3]
	s_cbranch_execz .LBB0_7
; %bb.6:
	v_mul_f64 v[126:127], v[204:205], s[18:19]
	v_add_f64 v[18:19], v[18:19], v[126:127]
	v_mul_f64 v[126:127], v[184:185], s[14:15]
	v_add_f64 v[126:127], v[212:213], v[126:127]
	;; [unrolled: 2-line block ×8, first 2 shown]
	v_add_f64 v[120:121], v[34:35], v[120:121]
	v_add_f64 v[120:121], v[122:123], v[120:121]
	v_mul_f64 v[122:123], v[174:175], s[14:15]
	v_add_f64 v[108:109], v[122:123], -v[108:109]
	v_mul_f64 v[122:123], v[168:169], s[6:7]
	v_add_f64 v[106:107], v[122:123], -v[106:107]
	;; [unrolled: 2-line block ×7, first 2 shown]
	v_add_f64 v[120:121], v[124:125], v[120:121]
	v_add_f64 v[30:31], v[32:33], v[30:31]
	;; [unrolled: 1-line block ×8, first 2 shown]
	v_mul_f64 v[30:31], v[170:171], s[24:25]
	v_add_f64 v[110:111], v[126:127], v[110:111]
	v_add_f64 v[28:29], v[104:105], v[28:29]
	v_add_f64 v[30:31], v[116:117], v[30:31]
	v_mul_f64 v[116:117], v[130:131], s[22:23]
	v_add_f64 v[28:29], v[106:107], v[28:29]
	v_add_f64 v[102:103], v[18:19], v[110:111]
	v_mul_f64 v[110:111], v[142:143], s[6:7]
	v_add_f64 v[24:25], v[24:25], v[116:117]
	v_add_f64 v[28:29], v[108:109], v[28:29]
	;; [unrolled: 3-line block ×4, first 2 shown]
	v_mul_f64 v[110:111], v[140:141], s[6:7]
	v_mul_f64 v[120:121], v[196:197], s[18:19]
	;; [unrolled: 1-line block ×3, first 2 shown]
	v_add_f64 v[106:107], v[248:249], v[106:107]
	v_add_f64 v[24:25], v[108:109], v[24:25]
	v_add_f64 v[22:23], v[110:111], -v[22:23]
	v_mul_f64 v[110:111], v[128:129], s[22:23]
	v_add_f64 v[120:121], v[120:121], -v[166:167]
	v_add_f64 v[104:105], v[252:253], v[104:105]
	v_add_f64 v[24:25], v[106:107], v[24:25]
	v_add_f64 v[20:21], v[110:111], -v[20:21]
	v_add_f64 v[100:101], v[120:121], v[28:29]
	v_mul_f64 v[28:29], v[184:185], s[16:17]
	v_add_f64 v[24:25], v[104:105], v[24:25]
	v_mul_f64 v[106:107], v[160:161], s[0:1]
	v_mul_f64 v[108:109], v[148:149], s[18:19]
	v_add_f64 v[20:21], v[32:33], v[20:21]
	v_mul_f64 v[18:19], v[204:205], s[14:15]
	v_add_f64 v[28:29], v[118:119], v[28:29]
	v_add_f64 v[24:25], v[30:31], v[24:25]
	v_add_f64 v[26:27], v[106:107], -v[26:27]
	v_mul_f64 v[106:107], v[154:155], s[20:21]
	v_add_f64 v[108:109], v[108:109], -v[238:239]
	v_add_f64 v[20:21], v[22:23], v[20:21]
	v_add_f64 v[18:19], v[254:255], v[18:19]
	;; [unrolled: 1-line block ×3, first 2 shown]
	v_add_f64 v[106:107], v[106:107], -v[240:241]
	v_add_f64 v[20:21], v[108:109], v[20:21]
	v_add_f64 v[20:21], v[106:107], v[20:21]
	;; [unrolled: 1-line block ×3, first 2 shown]
	v_mul_f64 v[22:23], v[170:171], s[16:17]
	v_mul_f64 v[24:25], v[142:143], s[14:15]
	v_add_f64 v[16:17], v[16:17], v[22:23]
	v_mul_f64 v[22:23], v[162:163], s[18:19]
	v_add_f64 v[4:5], v[4:5], v[24:25]
	;; [unrolled: 2-line block ×4, first 2 shown]
	v_add_f64 v[10:11], v[10:11], v[22:23]
	v_mul_f64 v[22:23], v[150:151], s[0:1]
	v_add_f64 v[2:3], v[34:35], v[2:3]
	v_add_f64 v[22:23], v[230:231], v[22:23]
	;; [unrolled: 1-line block ×5, first 2 shown]
	v_mul_f64 v[104:105], v[168:169], s[24:25]
	v_add_f64 v[2:3], v[14:15], v[2:3]
	v_mul_f64 v[30:31], v[174:175], s[16:17]
	v_add_f64 v[104:105], v[104:105], -v[244:245]
	v_add_f64 v[20:21], v[26:27], v[20:21]
	v_add_f64 v[2:3], v[16:17], v[2:3]
	v_mul_f64 v[4:5], v[196:197], s[6:7]
	v_mul_f64 v[16:17], v[128:129], s[20:21]
	;; [unrolled: 1-line block ×3, first 2 shown]
	v_add_f64 v[30:31], v[30:31], -v[246:247]
	v_add_f64 v[20:21], v[104:105], v[20:21]
	v_add_f64 v[4:5], v[4:5], -v[12:13]
	v_mul_f64 v[12:13], v[154:155], s[22:23]
	v_mul_f64 v[14:15], v[140:141], s[14:15]
	v_add_f64 v[16:17], v[16:17], -v[218:219]
	v_add_f64 v[28:29], v[28:29], -v[250:251]
	v_add_f64 v[20:21], v[30:31], v[20:21]
	v_mul_f64 v[10:11], v[174:175], s[24:25]
	v_add_f64 v[0:1], v[12:13], -v[0:1]
	v_mul_f64 v[12:13], v[148:149], s[0:1]
	v_add_f64 v[14:15], v[14:15], -v[220:221]
	v_add_f64 v[16:17], v[32:33], v[16:17]
	v_add_f64 v[104:105], v[28:29], v[20:21]
	v_mul_f64 v[20:21], v[184:185], s[24:25]
	v_add_f64 v[8:9], v[10:11], -v[8:9]
	v_mul_f64 v[10:11], v[168:169], s[16:17]
	v_add_f64 v[12:13], v[12:13], -v[222:223]
	v_add_f64 v[14:15], v[14:15], v[16:17]
	v_mul_f64 v[18:19], v[204:205], s[6:7]
	v_add_f64 v[20:21], v[234:235], v[20:21]
	v_add_f64 v[6:7], v[10:11], -v[6:7]
	v_mul_f64 v[10:11], v[160:161], s[18:19]
	v_add_f64 v[12:13], v[12:13], v[14:15]
	v_add_f64 v[18:19], v[236:237], v[18:19]
	;; [unrolled: 1-line block ×3, first 2 shown]
	v_add_f64 v[10:11], v[10:11], -v[228:229]
	v_add_f64 v[0:1], v[0:1], v[12:13]
	v_mul_f64 v[14:15], v[130:131], s[14:15]
	v_add_f64 v[0:1], v[10:11], v[0:1]
	v_add_f64 v[110:111], v[18:19], v[2:3]
	v_mul_f64 v[12:13], v[142:143], s[22:23]
	v_add_f64 v[14:15], v[186:187], v[14:15]
	v_mul_f64 v[18:19], v[128:129], s[14:15]
	;; [unrolled: 2-line block ×3, first 2 shown]
	v_add_f64 v[12:13], v[190:191], v[12:13]
	v_add_f64 v[14:15], v[34:35], v[14:15]
	v_mul_f64 v[16:17], v[140:141], s[22:23]
	v_add_f64 v[18:19], v[18:19], -v[112:113]
	v_add_f64 v[0:1], v[8:9], v[0:1]
	v_mul_f64 v[8:9], v[156:157], s[6:7]
	v_add_f64 v[10:11], v[194:195], v[10:11]
	v_add_f64 v[12:13], v[12:13], v[14:15]
	v_mul_f64 v[14:15], v[148:149], s[16:17]
	v_add_f64 v[16:17], v[16:17], -v[114:115]
	v_add_f64 v[18:19], v[32:33], v[18:19]
	v_mul_f64 v[6:7], v[162:163], s[24:25]
	v_add_f64 v[8:9], v[200:201], v[8:9]
	v_add_f64 v[10:11], v[10:11], v[12:13]
	v_mul_f64 v[12:13], v[154:155], s[6:7]
	v_add_f64 v[14:15], v[14:15], -v[164:165]
	v_add_f64 v[16:17], v[16:17], v[18:19]
	v_add_f64 v[6:7], v[206:207], v[6:7]
	;; [unrolled: 1-line block ×3, first 2 shown]
	v_mul_f64 v[10:11], v[160:161], s[24:25]
	v_add_f64 v[12:13], v[12:13], -v[182:183]
	v_add_f64 v[14:15], v[14:15], v[16:17]
	v_add_f64 v[6:7], v[6:7], v[8:9]
	v_mul_f64 v[8:9], v[168:169], s[18:19]
	v_add_f64 v[10:11], v[10:11], -v[188:189]
	v_add_f64 v[12:13], v[12:13], v[14:15]
	v_add_f64 v[8:9], v[8:9], -v[192:193]
	v_add_f64 v[10:11], v[10:11], v[12:13]
	v_accvgpr_read_b32 v12, a148
	v_add_f64 v[8:9], v[8:9], v[10:11]
	v_mul_f64 v[10:11], v[150:151], s[14:15]
	v_accvgpr_read_b32 v13, a149
	v_accvgpr_read_b32 v14, a144
	v_add_f64 v[108:109], v[4:5], v[0:1]
	v_mul_f64 v[4:5], v[170:171], s[18:19]
	v_add_f64 v[10:11], v[12:13], v[10:11]
	v_mul_f64 v[12:13], v[142:143], s[24:25]
	v_accvgpr_read_b32 v15, a145
	v_accvgpr_read_b32 v16, a140
	v_mul_f64 v[2:3], v[184:185], s[0:1]
	v_add_f64 v[4:5], v[210:211], v[4:5]
	v_add_f64 v[12:13], v[14:15], v[12:13]
	v_mul_f64 v[14:15], v[130:131], s[18:19]
	v_accvgpr_read_b32 v17, a141
	v_add_f64 v[2:3], v[214:215], v[2:3]
	v_add_f64 v[4:5], v[4:5], v[6:7]
	v_mul_f64 v[6:7], v[174:175], s[0:1]
	v_add_f64 v[14:15], v[16:17], v[14:15]
	v_add_f64 v[2:3], v[2:3], v[4:5]
	v_mul_f64 v[4:5], v[196:197], s[20:21]
	v_add_f64 v[6:7], v[6:7], -v[198:199]
	v_add_f64 v[14:15], v[34:35], v[14:15]
	v_add_f64 v[4:5], v[4:5], -v[202:203]
	v_add_f64 v[6:7], v[6:7], v[8:9]
	v_mul_f64 v[8:9], v[156:157], s[0:1]
	v_add_f64 v[12:13], v[12:13], v[14:15]
	v_add_f64 v[112:113], v[4:5], v[6:7]
	v_mul_f64 v[6:7], v[162:163], s[6:7]
	v_add_f64 v[8:9], v[138:139], v[8:9]
	v_add_f64 v[10:11], v[10:11], v[12:13]
	v_add_f64 v[6:7], v[144:145], v[6:7]
	v_add_f64 v[8:9], v[8:9], v[10:11]
	v_accvgpr_read_b32 v10, a146
	v_add_f64 v[6:7], v[6:7], v[8:9]
	v_mul_f64 v[8:9], v[168:169], s[22:23]
	v_accvgpr_read_b32 v11, a147
	v_accvgpr_read_b32 v12, a142
	v_add_f64 v[8:9], v[8:9], -v[10:11]
	v_mul_f64 v[10:11], v[160:161], s[6:7]
	v_accvgpr_read_b32 v13, a143
	v_accvgpr_read_b32 v14, a138
	v_add_f64 v[10:11], v[10:11], -v[12:13]
	;; [unrolled: 4-line block ×5, first 2 shown]
	v_mul_f64 v[18:19], v[128:129], s[18:19]
	v_accvgpr_read_b32 v21, a133
	v_add_f64 v[18:19], v[18:19], -v[20:21]
	v_add_f64 v[18:19], v[32:33], v[18:19]
	v_mul_f64 v[0:1], v[204:205], s[20:21]
	v_add_f64 v[16:17], v[16:17], v[18:19]
	v_add_f64 v[0:1], v[216:217], v[0:1]
	v_mul_f64 v[4:5], v[170:171], s[22:23]
	v_add_f64 v[14:15], v[14:15], v[16:17]
	v_add_f64 v[114:115], v[0:1], v[2:3]
	v_mul_f64 v[2:3], v[184:185], s[20:21]
	v_add_f64 v[4:5], v[146:147], v[4:5]
	v_add_f64 v[12:13], v[12:13], v[14:15]
	v_mul_f64 v[0:1], v[204:205], s[16:17]
	v_add_f64 v[2:3], v[152:153], v[2:3]
	v_add_f64 v[4:5], v[4:5], v[6:7]
	v_mul_f64 v[6:7], v[174:175], s[20:21]
	v_add_f64 v[10:11], v[10:11], v[12:13]
	v_add_f64 v[0:1], v[158:159], v[0:1]
	v_add_f64 v[2:3], v[2:3], v[4:5]
	v_mul_f64 v[4:5], v[196:197], s[16:17]
	v_add_f64 v[6:7], v[6:7], -v[136:137]
	v_add_f64 v[8:9], v[8:9], v[10:11]
	v_add_f64 v[4:5], v[4:5], -v[180:181]
	v_add_f64 v[6:7], v[6:7], v[8:9]
	v_add_f64 v[118:119], v[0:1], v[2:3]
	v_accvgpr_read_b32 v2, a130
	v_add_f64 v[116:117], v[4:5], v[6:7]
	v_mul_f64 v[0:1], v[204:205], s[22:23]
	v_accvgpr_read_b32 v3, a131
	v_accvgpr_read_b32 v4, a128
	v_add_f64 v[0:1], v[2:3], v[0:1]
	v_mul_f64 v[2:3], v[184:185], s[18:19]
	v_accvgpr_read_b32 v5, a129
	;; [unrolled: 4-line block ×4, first 2 shown]
	v_accvgpr_read_b32 v10, a122
	v_accvgpr_read_b32 v133, a101
	v_add_f64 v[6:7], v[8:9], v[6:7]
	v_mul_f64 v[8:9], v[156:157], s[14:15]
	v_accvgpr_read_b32 v11, a123
	v_accvgpr_read_b32 v12, a120
	v_mul_f64 v[20:21], v[128:129], s[6:7]
	v_accvgpr_read_b32 v127, a103
	v_accvgpr_read_b32 v132, a100
	v_add_f64 v[8:9], v[10:11], v[8:9]
	v_mul_f64 v[10:11], v[150:151], s[24:25]
	v_accvgpr_read_b32 v13, a121
	v_accvgpr_read_b32 v14, a116
	v_mul_f64 v[24:25], v[140:141], s[20:21]
	v_accvgpr_read_b32 v126, a102
	v_add_f64 v[20:21], v[20:21], -v[132:133]
	v_add_f64 v[10:11], v[12:13], v[10:11]
	v_mul_f64 v[12:13], v[142:143], s[20:21]
	v_accvgpr_read_b32 v15, a117
	v_accvgpr_read_b32 v16, a114
	v_add_f64 v[24:25], v[24:25], -v[126:127]
	v_add_f64 v[20:21], v[32:33], v[20:21]
	v_add_f64 v[12:13], v[14:15], v[12:13]
	v_mul_f64 v[14:15], v[130:131], s[6:7]
	v_accvgpr_read_b32 v17, a115
	v_add_f64 v[20:21], v[24:25], v[20:21]
	v_mul_f64 v[24:25], v[156:157], s[18:19]
	v_mul_f64 v[136:137], v[156:157], s[24:25]
	v_accvgpr_read_b32 v157, a97
	v_add_f64 v[14:15], v[16:17], v[14:15]
	v_mul_f64 v[146:147], v[184:185], s[6:7]
	v_accvgpr_read_b32 v156, a96
	v_add_f64 v[14:15], v[34:35], v[14:15]
	v_add_f64 v[146:147], v[156:157], v[146:147]
	v_accvgpr_read_b32 v157, a95
	v_add_f64 v[12:13], v[12:13], v[14:15]
	v_mul_f64 v[144:145], v[170:171], s[14:15]
	v_accvgpr_read_b32 v156, a94
	v_add_f64 v[10:11], v[10:11], v[12:13]
	v_add_f64 v[144:145], v[156:157], v[144:145]
	v_accvgpr_read_b32 v157, a91
	v_add_f64 v[8:9], v[8:9], v[10:11]
	v_mul_f64 v[22:23], v[140:141], s[16:17]
	v_mul_f64 v[10:11], v[140:141], s[18:19]
	v_mul_f64 v[140:141], v[162:163], s[22:23]
	v_accvgpr_read_b32 v156, a90
	v_add_f64 v[140:141], v[156:157], v[140:141]
	v_accvgpr_read_b32 v157, a87
	v_accvgpr_read_b32 v156, a86
	v_add_f64 v[136:137], v[156:157], v[136:137]
	v_accvgpr_read_b32 v157, a83
	v_mul_f64 v[14:15], v[130:131], s[0:1]
	v_mul_f64 v[18:19], v[130:131], s[16:17]
	;; [unrolled: 1-line block ×3, first 2 shown]
	v_accvgpr_read_b32 v156, a82
	v_add_f64 v[6:7], v[6:7], v[8:9]
	v_add_f64 v[130:131], v[156:157], v[130:131]
	v_accvgpr_read_b32 v157, a79
	v_add_f64 v[4:5], v[4:5], v[6:7]
	v_mul_f64 v[6:7], v[142:143], s[18:19]
	v_accvgpr_read_b32 v156, a78
	v_add_f64 v[6:7], v[156:157], v[6:7]
	v_accvgpr_read_b32 v157, a77
	v_accvgpr_read_b32 v156, a76
	v_add_f64 v[18:19], v[156:157], v[18:19]
	v_add_f64 v[18:19], v[34:35], v[18:19]
	;; [unrolled: 1-line block ×3, first 2 shown]
	v_accvgpr_read_b32 v26, a118
	v_add_f64 v[6:7], v[130:131], v[6:7]
	v_add_f64 v[2:3], v[2:3], v[4:5]
	v_mul_f64 v[4:5], v[196:197], s[22:23]
	v_accvgpr_read_b32 v27, a119
	v_accvgpr_read_b32 v28, a112
	v_add_f64 v[6:7], v[136:137], v[6:7]
	v_accvgpr_read_b32 v137, a81
	v_add_f64 v[4:5], v[4:5], -v[26:27]
	v_mul_f64 v[26:27], v[174:175], s[18:19]
	v_accvgpr_read_b32 v29, a113
	v_accvgpr_read_b32 v30, a110
	v_mul_f64 v[138:139], v[160:161], s[22:23]
	v_accvgpr_read_b32 v136, a80
	v_add_f64 v[26:27], v[26:27], -v[28:29]
	v_mul_f64 v[28:29], v[168:169], s[0:1]
	v_accvgpr_read_b32 v31, a111
	v_accvgpr_read_b32 v121, a109
	v_add_f64 v[136:137], v[138:139], -v[136:137]
	v_accvgpr_read_b32 v139, a75
	v_add_f64 v[28:29], v[28:29], -v[30:31]
	v_mul_f64 v[30:31], v[160:161], s[16:17]
	v_accvgpr_read_b32 v120, a108
	v_accvgpr_read_b32 v123, a107
	v_mul_f64 v[134:135], v[154:155], s[24:25]
	v_accvgpr_read_b32 v138, a74
	v_add_f64 v[30:31], v[30:31], -v[120:121]
	v_mul_f64 v[120:121], v[154:155], s[14:15]
	v_accvgpr_read_b32 v122, a106
	v_accvgpr_read_b32 v125, a105
	v_add_f64 v[134:135], v[134:135], -v[138:139]
	v_accvgpr_read_b32 v139, a73
	v_mul_f64 v[16:17], v[128:129], s[0:1]
	v_mul_f64 v[12:13], v[128:129], s[16:17]
	v_add_f64 v[120:121], v[120:121], -v[122:123]
	v_mul_f64 v[122:123], v[148:149], s[24:25]
	v_accvgpr_read_b32 v124, a104
	v_mul_f64 v[128:129], v[148:149], s[20:21]
	v_accvgpr_read_b32 v138, a72
	v_add_f64 v[122:123], v[122:123], -v[124:125]
	v_add_f64 v[128:129], v[128:129], -v[138:139]
	v_accvgpr_read_b32 v139, a71
	v_add_f64 v[20:21], v[122:123], v[20:21]
	v_accvgpr_read_b32 v138, a70
	v_add_f64 v[20:21], v[120:121], v[20:21]
	v_add_f64 v[10:11], v[10:11], -v[138:139]
	v_accvgpr_read_b32 v139, a69
	v_add_f64 v[20:21], v[30:31], v[20:21]
	v_accvgpr_read_b32 v138, a68
	v_add_f64 v[20:21], v[28:29], v[20:21]
	v_add_f64 v[12:13], v[12:13], -v[138:139]
	v_add_f64 v[20:21], v[26:27], v[20:21]
	v_accvgpr_read_b32 v131, a89
	v_add_f64 v[12:13], v[32:33], v[12:13]
	v_add_f64 v[2:3], v[0:1], v[2:3]
	;; [unrolled: 1-line block ×3, first 2 shown]
	v_mul_f64 v[4:5], v[174:175], s[6:7]
	v_accvgpr_read_b32 v130, a88
	v_add_f64 v[10:11], v[10:11], v[12:13]
	v_add_f64 v[4:5], v[4:5], -v[130:131]
	v_accvgpr_read_b32 v131, a85
	v_add_f64 v[10:11], v[128:129], v[10:11]
	v_mul_f64 v[8:9], v[142:143], s[16:17]
	v_mul_f64 v[142:143], v[168:169], s[14:15]
	v_accvgpr_read_b32 v130, a84
	v_add_f64 v[10:11], v[134:135], v[10:11]
	v_accvgpr_read_b32 v12, a62
	v_mul_f64 v[20:21], v[184:185], s[22:23]
	v_accvgpr_read_b32 v18, a92
	v_add_f64 v[130:131], v[142:143], -v[130:131]
	v_add_f64 v[10:11], v[136:137], v[10:11]
	v_accvgpr_read_b32 v13, a63
	v_mul_f64 v[132:133], v[154:155], s[18:19]
	v_mul_f64 v[154:155], v[196:197], s[0:1]
	v_accvgpr_read_b32 v19, a93
	v_add_f64 v[10:11], v[130:131], v[10:11]
	v_add_f64 v[12:13], v[12:13], v[20:21]
	v_accvgpr_read_b32 v20, a54
	v_mul_f64 v[120:121], v[162:163], s[14:15]
	v_add_f64 v[18:19], v[154:155], -v[18:19]
	v_add_f64 v[4:5], v[4:5], v[10:11]
	v_accvgpr_read_b32 v21, a55
	v_add_f64 v[4:5], v[18:19], v[4:5]
	v_accvgpr_read_b32 v18, a58
	;; [unrolled: 2-line block ×3, first 2 shown]
	v_mul_f64 v[28:29], v[170:171], s[20:21]
	v_accvgpr_read_b32 v19, a59
	v_accvgpr_read_b32 v120, a42
	v_add_f64 v[18:19], v[18:19], v[28:29]
	v_accvgpr_read_b32 v28, a50
	v_add_f64 v[8:9], v[120:121], v[8:9]
	v_accvgpr_read_b32 v121, a39
	v_accvgpr_read_b32 v29, a51
	v_accvgpr_read_b32 v120, a38
	v_add_f64 v[24:25], v[28:29], v[24:25]
	v_accvgpr_read_b32 v28, a46
	v_add_f64 v[14:15], v[120:121], v[14:15]
	v_mul_f64 v[126:127], v[150:151], s[6:7]
	v_accvgpr_read_b32 v29, a47
	v_add_f64 v[14:15], v[34:35], v[14:15]
	v_add_f64 v[28:29], v[28:29], v[126:127]
	;; [unrolled: 1-line block ×8, first 2 shown]
	v_accvgpr_read_b32 v12, a60
	v_mul_f64 v[26:27], v[174:175], s[22:23]
	v_accvgpr_read_b32 v13, a61
	v_add_f64 v[12:13], v[26:27], -v[12:13]
	v_accvgpr_read_b32 v26, a40
	v_accvgpr_read_b32 v27, a41
	v_add_f64 v[22:23], v[22:23], -v[26:27]
	v_accvgpr_read_b32 v26, a36
	v_accvgpr_read_b32 v27, a37
	;; [unrolled: 1-line block ×3, first 2 shown]
	v_add_f64 v[16:17], v[16:17], -v[26:27]
	v_mul_f64 v[124:125], v[148:149], s[6:7]
	v_accvgpr_read_b32 v20, a48
	v_accvgpr_read_b32 v25, a45
	v_add_f64 v[16:17], v[32:33], v[16:17]
	v_accvgpr_read_b32 v10, a66
	v_accvgpr_read_b32 v18, a52
	;; [unrolled: 1-line block ×3, first 2 shown]
	v_add_f64 v[24:25], v[124:125], -v[24:25]
	v_add_f64 v[16:17], v[22:23], v[16:17]
	v_mul_f64 v[122:123], v[160:161], s[14:15]
	v_mul_f64 v[152:153], v[204:205], s[24:25]
	v_accvgpr_read_b32 v11, a67
	v_accvgpr_read_b32 v14, a56
	;; [unrolled: 1-line block ×3, first 2 shown]
	v_add_f64 v[20:21], v[132:133], -v[20:21]
	v_add_f64 v[16:17], v[24:25], v[16:17]
	v_mul_f64 v[30:31], v[168:169], s[20:21]
	v_accvgpr_read_b32 v151, a99
	v_add_f64 v[10:11], v[10:11], v[152:153]
	v_accvgpr_read_b32 v15, a57
	v_add_f64 v[18:19], v[122:123], -v[18:19]
	v_add_f64 v[16:17], v[20:21], v[16:17]
	v_mul_f64 v[148:149], v[204:205], s[0:1]
	v_accvgpr_read_b32 v150, a98
	v_add_f64 v[10:11], v[10:11], v[8:9]
	v_accvgpr_read_b32 v8, a64
	v_add_f64 v[14:15], v[30:31], -v[14:15]
	v_add_f64 v[16:17], v[18:19], v[16:17]
	v_add_f64 v[148:149], v[150:151], v[148:149]
	v_mul_f64 v[150:151], v[196:197], s[24:25]
	v_accvgpr_read_b32 v9, a65
	v_add_f64 v[14:15], v[14:15], v[16:17]
	v_add_f64 v[8:9], v[150:151], -v[8:9]
	v_add_f64 v[12:13], v[12:13], v[14:15]
	v_add_f64 v[8:9], v[8:9], v[12:13]
	;; [unrolled: 1-line block ×35, first 2 shown]
	v_accvgpr_read_b32 v16, a3
	v_add_f64 v[6:7], v[146:147], v[6:7]
	v_add_f64 v[12:13], v[12:13], v[96:97]
	v_add_lshl_u32 v16, v16, v177, 4
	v_add_f64 v[6:7], v[148:149], v[6:7]
	ds_write_b128 v16, v[12:15]
	ds_write_b128 v16, v[8:11] offset:16
	ds_write_b128 v16, v[4:7] offset:32
	;; [unrolled: 1-line block ×16, first 2 shown]
.LBB0_7:
	s_or_b64 exec, exec, s[26:27]
	s_movk_i32 s0, 0xf1
	v_add_u16_e32 v0, 51, v224
	v_mul_lo_u16_sdwa v1, v0, s0 dst_sel:DWORD dst_unused:UNUSED_PAD src0_sel:BYTE_0 src1_sel:DWORD
	v_lshrrev_b16_e32 v4, 12, v1
	v_mul_lo_u16_e32 v1, 17, v4
	v_sub_u16_e32 v78, v0, v1
	v_mov_b32_e32 v0, 5
	v_lshlrev_b32_sdwa v1, v0, v78 dst_sel:DWORD dst_unused:UNUSED_PAD src0_sel:DWORD src1_sel:BYTE_0
	s_load_dwordx4 s[4:7], s[4:5], 0x0
	s_waitcnt lgkmcnt(0)
	s_barrier
	global_load_dwordx4 v[32:35], v1, s[10:11] offset:16
	global_load_dwordx4 v[36:39], v1, s[10:11]
	v_add_u16_e32 v1, 0x66, v224
	v_mul_lo_u16_sdwa v2, v1, s0 dst_sel:DWORD dst_unused:UNUSED_PAD src0_sel:BYTE_0 src1_sel:DWORD
	v_lshrrev_b16_e32 v79, 12, v2
	v_mul_lo_u16_e32 v2, 17, v79
	v_sub_u16_e32 v80, v1, v2
	v_lshlrev_b32_sdwa v0, v0, v80 dst_sel:DWORD dst_unused:UNUSED_PAD src0_sel:DWORD src1_sel:BYTE_0
	global_load_dwordx4 v[44:47], v0, s[10:11]
	global_load_dwordx4 v[40:43], v0, s[10:11] offset:16
	v_mul_lo_u16_sdwa v0, v224, s0 dst_sel:DWORD dst_unused:UNUSED_PAD src0_sel:BYTE_0 src1_sel:DWORD
	v_lshrrev_b16_e32 v81, 12, v0
	v_mul_lo_u16_e32 v0, 17, v81
	v_sub_u16_e32 v82, v224, v0
	v_lshlrev_b16_e32 v0, 1, v82
	v_and_b32_e32 v0, 0xfe, v0
	v_lshlrev_b32_e32 v0, 4, v0
	global_load_dwordx4 v[52:55], v0, s[10:11]
	global_load_dwordx4 v[48:51], v0, s[10:11] offset:16
	v_accvgpr_read_b32 v83, a3
	v_add_lshl_u32 v5, v83, v224, 4
	ds_read_b128 v[6:9], v5
	ds_read_b128 v[10:13], v5 offset:816
	ds_read_b128 v[0:3], v5 offset:3264
	;; [unrolled: 1-line block ×8, first 2 shown]
	s_mov_b32 s0, 0xe8584caa
	s_mov_b32 s1, 0x3febb67a
	;; [unrolled: 1-line block ×4, first 2 shown]
	s_waitcnt lgkmcnt(0)
	s_barrier
	s_mov_b32 s18, 0xa2cf5039
	s_mov_b32 s16, 0x8c811c17
	;; [unrolled: 1-line block ×10, first 2 shown]
	s_waitcnt vmcnt(5)
	v_mul_f64 v[66:67], v[20:21], v[34:35]
	s_waitcnt vmcnt(4)
	v_mul_f64 v[30:31], v[2:3], v[38:39]
	v_mul_f64 v[64:65], v[0:1], v[38:39]
	;; [unrolled: 1-line block ×3, first 2 shown]
	v_fma_f64 v[0:1], v[0:1], v[36:37], -v[30:31]
	v_fmac_f64_e32 v[64:65], v[2:3], v[36:37]
	v_fma_f64 v[2:3], v[18:19], v[32:33], -v[66:67]
	s_waitcnt vmcnt(3)
	v_mul_f64 v[70:71], v[58:59], v[46:47]
	v_mul_f64 v[72:73], v[56:57], v[46:47]
	s_waitcnt vmcnt(2)
	v_mul_f64 v[74:75], v[62:63], v[42:43]
	v_mul_f64 v[76:77], v[60:61], v[42:43]
	v_fmac_f64_e32 v[68:69], v[20:21], v[32:33]
	v_fma_f64 v[30:31], v[56:57], v[44:45], -v[70:71]
	v_fmac_f64_e32 v[72:73], v[58:59], v[44:45]
	v_fma_f64 v[66:67], v[60:61], v[40:41], -v[74:75]
	s_waitcnt vmcnt(1)
	v_mul_f64 v[18:19], v[24:25], v[54:55]
	v_mul_f64 v[20:21], v[22:23], v[54:55]
	s_waitcnt vmcnt(0)
	v_mul_f64 v[56:57], v[16:17], v[50:51]
	v_mul_f64 v[58:59], v[14:15], v[50:51]
	v_fmac_f64_e32 v[76:77], v[62:63], v[40:41]
	v_add_f64 v[60:61], v[10:11], v[0:1]
	v_add_f64 v[62:63], v[0:1], v[2:3]
	v_add_f64 v[70:71], v[64:65], -v[68:69]
	v_add_f64 v[74:75], v[12:13], v[64:65]
	v_add_f64 v[64:65], v[64:65], v[68:69]
	v_fma_f64 v[18:19], v[22:23], v[52:53], -v[18:19]
	v_fmac_f64_e32 v[20:21], v[24:25], v[52:53]
	v_fma_f64 v[22:23], v[14:15], v[48:49], -v[56:57]
	v_fmac_f64_e32 v[58:59], v[16:17], v[48:49]
	v_add_f64 v[14:15], v[60:61], v[2:3]
	v_fmac_f64_e32 v[10:11], -0.5, v[62:63]
	v_add_f64 v[56:57], v[18:19], v[22:23]
	v_add_f64 v[60:61], v[20:21], -v[58:59]
	v_add_f64 v[62:63], v[8:9], v[20:21]
	v_add_f64 v[20:21], v[20:21], v[58:59]
	v_fmac_f64_e32 v[12:13], -0.5, v[64:65]
	v_add_f64 v[0:1], v[0:1], -v[2:3]
	v_add_f64 v[24:25], v[6:7], v[18:19]
	v_fmac_f64_e32 v[6:7], -0.5, v[56:57]
	v_fmac_f64_e32 v[8:9], -0.5, v[20:21]
	v_fma_f64 v[20:21], s[14:15], v[0:1], v[12:13]
	v_fmac_f64_e32 v[12:13], s[0:1], v[0:1]
	v_add_f64 v[0:1], v[26:27], v[30:31]
	v_fma_f64 v[56:57], s[0:1], v[60:61], v[6:7]
	v_fmac_f64_e32 v[6:7], s[14:15], v[60:61]
	v_add_f64 v[60:61], v[0:1], v[66:67]
	v_add_f64 v[0:1], v[30:31], v[66:67]
	v_fmac_f64_e32 v[26:27], -0.5, v[0:1]
	v_add_f64 v[0:1], v[72:73], -v[76:77]
	v_fma_f64 v[64:65], s[0:1], v[0:1], v[26:27]
	v_fmac_f64_e32 v[26:27], s[14:15], v[0:1]
	v_add_f64 v[0:1], v[28:29], v[72:73]
	v_add_f64 v[16:17], v[74:75], v[68:69]
	v_add_f64 v[68:69], v[18:19], -v[22:23]
	v_add_f64 v[22:23], v[24:25], v[22:23]
	v_add_f64 v[24:25], v[62:63], v[58:59]
	;; [unrolled: 1-line block ×4, first 2 shown]
	v_fmac_f64_e32 v[28:29], -0.5, v[0:1]
	v_add_f64 v[0:1], v[30:31], -v[66:67]
	v_fma_f64 v[66:67], s[14:15], v[0:1], v[28:29]
	v_fmac_f64_e32 v[28:29], s[0:1], v[0:1]
	v_mad_legacy_u16 v0, v81, 51, v82
	v_and_b32_e32 v0, 0xff, v0
	v_add_lshl_u32 v142, v83, v0, 4
	v_mul_u32_u24_e32 v0, 51, v4
	v_add_u32_sdwa v0, v0, v78 dst_sel:DWORD dst_unused:UNUSED_PAD src0_sel:DWORD src1_sel:BYTE_0
	v_fma_f64 v[58:59], s[14:15], v[68:69], v[8:9]
	v_fmac_f64_e32 v[8:9], s[0:1], v[68:69]
	ds_write_b128 v142, v[22:25]
	ds_write_b128 v142, v[56:59] offset:272
	ds_write_b128 v142, v[6:9] offset:544
	v_add_lshl_u32 v56, v83, v0, 4
	v_mul_u32_u24_e32 v0, 51, v79
	v_add_u32_sdwa v0, v0, v80 dst_sel:DWORD dst_unused:UNUSED_PAD src0_sel:DWORD src1_sel:BYTE_0
	v_add_lshl_u32 v57, v83, v0, 4
	v_lshlrev_b32_e32 v0, 7, v224
	v_fma_f64 v[18:19], s[0:1], v[70:71], v[10:11]
	v_fmac_f64_e32 v[10:11], s[14:15], v[70:71]
	ds_write_b128 v56, v[14:17]
	ds_write_b128 v56, v[18:21] offset:272
	ds_write_b128 v56, v[10:13] offset:544
	ds_write_b128 v57, v[60:63]
	ds_write_b128 v57, v[64:67] offset:272
	ds_write_b128 v57, v[26:29] offset:544
	s_waitcnt lgkmcnt(0)
	s_barrier
	global_load_dwordx4 v[68:71], v0, s[10:11] offset:544
	global_load_dwordx4 v[64:67], v0, s[10:11] offset:560
	;; [unrolled: 1-line block ×8, first 2 shown]
	ds_read_b128 v[116:119], v5
	ds_read_b128 v[6:9], v5 offset:816
	ds_read_b128 v[10:13], v5 offset:1632
	;; [unrolled: 1-line block ×8, first 2 shown]
	s_mov_b32 s11, 0x3fe491b7
	s_mov_b32 s10, 0x523c161c
	;; [unrolled: 1-line block ×4, first 2 shown]
	v_accvgpr_read_b32 v0, a1
	v_lshl_add_u32 v4, v224, 4, v0
	s_waitcnt vmcnt(7) lgkmcnt(7)
	v_mul_f64 v[30:31], v[8:9], v[70:71]
	s_waitcnt vmcnt(6) lgkmcnt(6)
	v_mul_f64 v[100:101], v[10:11], v[66:67]
	;; [unrolled: 2-line block ×6, first 2 shown]
	v_mul_f64 v[96:97], v[6:7], v[70:71]
	v_mul_f64 v[98:99], v[12:13], v[66:67]
	;; [unrolled: 1-line block ×5, first 2 shown]
	v_fmac_f64_e32 v[100:101], v[12:13], v[64:65]
	v_fmac_f64_e32 v[104:105], v[16:17], v[144:145]
	v_fma_f64 v[12:13], v[18:19], v[58:59], -v[106:107]
	v_fmac_f64_e32 v[122:123], v[24:25], v[84:85]
	v_fma_f64 v[16:17], v[26:27], v[80:81], -v[110:111]
	v_mul_f64 v[18:19], v[26:27], v[82:83]
	s_waitcnt vmcnt(0) lgkmcnt(0)
	v_mul_f64 v[24:25], v[94:95], v[74:75]
	v_mul_f64 v[26:27], v[92:93], v[74:75]
	v_fma_f64 v[6:7], v[6:7], v[68:69], -v[30:31]
	v_fmac_f64_e32 v[96:97], v[8:9], v[68:69]
	v_fma_f64 v[8:9], v[10:11], v[64:65], -v[98:99]
	v_fma_f64 v[10:11], v[14:15], v[144:145], -v[102:103]
	v_fmac_f64_e32 v[120:121], v[20:21], v[58:59]
	v_fma_f64 v[14:15], v[22:23], v[84:85], -v[108:109]
	v_mul_f64 v[20:21], v[90:91], v[78:79]
	v_mul_f64 v[22:23], v[88:89], v[78:79]
	v_fma_f64 v[24:25], v[92:93], v[72:73], -v[24:25]
	v_fmac_f64_e32 v[26:27], v[94:95], v[72:73]
	v_fmac_f64_e32 v[18:19], v[28:29], v[80:81]
	v_fma_f64 v[20:21], v[88:89], v[76:77], -v[20:21]
	v_fmac_f64_e32 v[22:23], v[90:91], v[76:77]
	v_add_f64 v[28:29], v[6:7], v[24:25]
	v_add_f64 v[30:31], v[96:97], v[26:27]
	v_add_f64 v[6:7], v[6:7], -v[24:25]
	v_add_f64 v[124:125], v[8:9], v[20:21]
	v_add_f64 v[126:127], v[100:101], v[22:23]
	;; [unrolled: 1-line block ×4, first 2 shown]
	v_add_f64 v[8:9], v[8:9], -v[20:21]
	v_add_f64 v[10:11], v[10:11], -v[16:17]
	;; [unrolled: 1-line block ×3, first 2 shown]
	v_mul_f64 v[18:19], v[6:7], s[10:11]
	v_fma_f64 v[90:91], s[18:19], v[30:31], v[118:119]
	v_fmac_f64_e32 v[18:19], s[16:17], v[8:9]
	v_fmac_f64_e32 v[90:91], s[20:21], v[126:127]
	v_add_f64 v[24:25], v[96:97], -v[26:27]
	v_fmac_f64_e32 v[18:19], s[0:1], v[10:11]
	v_add_f64 v[26:27], v[12:13], -v[14:15]
	v_fmac_f64_e32 v[90:91], -0.5, v[130:131]
	v_add_f64 v[134:135], v[120:121], v[122:123]
	v_fmac_f64_e32 v[18:19], s[22:23], v[26:27]
	v_fmac_f64_e32 v[90:91], s[24:25], v[134:135]
	v_add_f64 v[20:21], v[100:101], -v[22:23]
	v_mul_f64 v[22:23], v[24:25], s[10:11]
	v_add_f64 v[90:91], v[90:91], -v[18:19]
	s_mov_b32 s11, 0xbfe491b7
	v_fma_f64 v[98:99], 2.0, v[18:19], v[90:91]
	v_mul_f64 v[18:19], v[26:27], s[10:11]
	v_fma_f64 v[94:95], s[18:19], v[134:135], v[118:119]
	v_fma_f64 v[88:89], s[18:19], v[28:29], v[116:117]
	v_fmac_f64_e32 v[18:19], s[16:17], v[6:7]
	v_fmac_f64_e32 v[94:95], s[20:21], v[30:31]
	;; [unrolled: 1-line block ×5, first 2 shown]
	v_fmac_f64_e32 v[94:95], -0.5, v[130:131]
	v_fmac_f64_e32 v[22:23], s[0:1], v[16:17]
	v_add_f64 v[104:105], v[120:121], -v[122:123]
	v_fmac_f64_e32 v[88:89], -0.5, v[128:129]
	v_add_f64 v[132:133], v[12:13], v[14:15]
	v_fmac_f64_e32 v[18:19], s[22:23], v[8:9]
	v_fmac_f64_e32 v[94:95], s[24:25], v[126:127]
	;; [unrolled: 1-line block ×4, first 2 shown]
	v_add_f64 v[94:95], v[94:95], -v[18:19]
	v_add_f64 v[138:139], v[126:127], v[30:31]
	v_add_f64 v[88:89], v[22:23], v[88:89]
	v_fma_f64 v[110:111], 2.0, v[18:19], v[94:95]
	v_add_f64 v[18:19], v[26:27], v[6:7]
	v_add_f64 v[102:103], v[118:119], v[130:131]
	;; [unrolled: 1-line block ×3, first 2 shown]
	v_fma_f64 v[96:97], -2.0, v[22:23], v[88:89]
	v_mul_f64 v[22:23], v[104:105], s[10:11]
	v_fma_f64 v[92:93], s[18:19], v[132:133], v[116:117]
	v_add_f64 v[18:19], v[18:19], -v[8:9]
	v_fmac_f64_e32 v[102:103], -0.5, v[140:141]
	v_fmac_f64_e32 v[22:23], s[16:17], v[24:25]
	v_fmac_f64_e32 v[92:93], s[20:21], v[28:29]
	v_mul_f64 v[106:107], v[18:19], s[0:1]
	v_fmac_f64_e32 v[102:103], s[14:15], v[18:19]
	v_mul_f64 v[18:19], v[26:27], s[16:17]
	v_fmac_f64_e32 v[22:23], s[14:15], v[16:17]
	v_fmac_f64_e32 v[92:93], -0.5, v[128:129]
	v_fma_f64 v[8:9], v[8:9], s[10:11], -v[18:19]
	v_fmac_f64_e32 v[22:23], s[22:23], v[20:21]
	v_fmac_f64_e32 v[92:93], s[24:25], v[124:125]
	v_add_f64 v[136:137], v[124:125], v[28:29]
	v_fmac_f64_e32 v[8:9], s[0:1], v[10:11]
	v_add_f64 v[92:93], v[22:23], v[92:93]
	;; [unrolled: 2-line block ×3, first 2 shown]
	v_add_f64 v[10:11], v[130:131], v[138:139]
	v_fma_f64 v[108:109], -2.0, v[22:23], v[92:93]
	v_add_f64 v[22:23], v[104:105], v[24:25]
	v_add_f64 v[100:101], v[116:117], v[128:129]
	;; [unrolled: 1-line block ×5, first 2 shown]
	v_add_f64 v[22:23], v[22:23], -v[20:21]
	v_fmac_f64_e32 v[100:101], -0.5, v[114:115]
	v_add_f64 v[6:7], v[14:15], v[6:7]
	v_add_f64 v[10:11], v[122:123], v[10:11]
	v_mul_f64 v[112:113], v[22:23], s[0:1]
	v_fmac_f64_e32 v[100:101], s[0:1], v[22:23]
	v_fma_f64 v[114:115], 2.0, v[106:107], v[102:103]
	v_mul_f64 v[22:23], v[104:105], s[16:17]
	v_add_f64 v[104:105], v[116:117], v[6:7]
	v_add_f64 v[106:107], v[118:119], v[10:11]
	v_fmac_f64_e32 v[116:117], s[18:19], v[124:125]
	v_fmac_f64_e32 v[118:119], s[18:19], v[126:127]
	v_fma_f64 v[18:19], v[20:21], s[10:11], -v[22:23]
	v_fmac_f64_e32 v[116:117], s[20:21], v[132:133]
	v_fmac_f64_e32 v[118:119], s[20:21], v[134:135]
	;; [unrolled: 1-line block ×3, first 2 shown]
	v_fmac_f64_e32 v[116:117], -0.5, v[128:129]
	v_fmac_f64_e32 v[118:119], -0.5, v[130:131]
	v_fmac_f64_e32 v[18:19], s[22:23], v[24:25]
	v_fmac_f64_e32 v[116:117], s[24:25], v[28:29]
	;; [unrolled: 1-line block ×3, first 2 shown]
	v_add_f64 v[116:117], v[18:19], v[116:117]
	v_add_f64 v[118:119], v[118:119], -v[8:9]
	v_fma_f64 v[112:113], -2.0, v[112:113], v[100:101]
	v_fma_f64 v[120:121], -2.0, v[18:19], v[116:117]
	v_fma_f64 v[122:123], 2.0, v[8:9], v[118:119]
	v_lshl_add_u32 v132, v224, 4, v0
	ds_write_b128 v132, v[104:107]
	ds_write_b128 v4, v[88:91] offset:816
	ds_write_b128 v4, v[92:95] offset:1632
	ds_write_b128 v4, v[100:103] offset:2448
	ds_write_b128 v4, v[116:119] offset:3264
	ds_write_b128 v4, v[120:123] offset:4080
	ds_write_b128 v4, v[112:115] offset:4896
	ds_write_b128 v4, v[108:111] offset:5712
	ds_write_b128 v4, v[96:99] offset:6528
	s_waitcnt lgkmcnt(0)
	s_barrier
	s_and_saveexec_b64 s[0:1], s[2:3]
	s_cbranch_execz .LBB0_9
; %bb.8:
	v_mov_b32_e32 v0, v177
	v_mov_b32_e32 v177, 0
	v_lshl_add_u64 v[124:125], s[8:9], 0, v[176:177]
	v_add_co_u32_e32 v12, vcc, 0x1000, v124
	ds_read_b128 v[8:11], v132
	s_nop 0
	v_addc_co_u32_e32 v13, vcc, 0, v125, vcc
	global_load_dwordx4 v[12:15], v[12:13], off offset:3248
	s_mov_b64 s[10:11], 0x1cb0
	v_lshl_add_u64 v[126:127], v[124:125], 0, s[10:11]
	s_movk_i32 s10, 0x2000
	v_add_co_u32_e32 v20, vcc, s10, v124
	s_movk_i32 s10, 0x3000
	s_nop 0
	v_addc_co_u32_e32 v21, vcc, 0, v125, vcc
	v_mov_b32_e32 v177, v0
	s_waitcnt vmcnt(0) lgkmcnt(0)
	v_mul_f64 v[16:17], v[10:11], v[14:15]
	v_mul_f64 v[18:19], v[8:9], v[14:15]
	v_fma_f64 v[16:17], v[8:9], v[12:13], -v[16:17]
	v_fmac_f64_e32 v[18:19], v[10:11], v[12:13]
	global_load_dwordx4 v[12:15], v[126:127], off offset:432
	ds_write_b128 v132, v[16:19]
	ds_read_b128 v[8:11], v4 offset:432
	s_waitcnt vmcnt(0) lgkmcnt(0)
	v_mul_f64 v[16:17], v[10:11], v[14:15]
	v_mul_f64 v[18:19], v[8:9], v[14:15]
	v_fma_f64 v[16:17], v[8:9], v[12:13], -v[16:17]
	v_fmac_f64_e32 v[18:19], v[10:11], v[12:13]
	global_load_dwordx4 v[12:15], v[126:127], off offset:864
	ds_read_b128 v[8:11], v4 offset:864
	ds_write_b128 v4, v[16:19] offset:432
	s_waitcnt vmcnt(0) lgkmcnt(1)
	v_mul_f64 v[16:17], v[10:11], v[14:15]
	v_mul_f64 v[18:19], v[8:9], v[14:15]
	v_fma_f64 v[16:17], v[8:9], v[12:13], -v[16:17]
	v_fmac_f64_e32 v[18:19], v[10:11], v[12:13]
	global_load_dwordx4 v[12:15], v[126:127], off offset:1296
	ds_read_b128 v[8:11], v4 offset:1296
	ds_write_b128 v4, v[16:19] offset:864
	;; [unrolled: 8-line block ×9, first 2 shown]
	s_waitcnt vmcnt(0) lgkmcnt(1)
	v_mul_f64 v[16:17], v[10:11], v[14:15]
	v_mul_f64 v[18:19], v[8:9], v[14:15]
	v_fma_f64 v[16:17], v[8:9], v[12:13], -v[16:17]
	v_fmac_f64_e32 v[18:19], v[10:11], v[12:13]
	global_load_dwordx4 v[12:15], v[20:21], off offset:3904
	ds_read_b128 v[8:11], v4 offset:4752
	v_add_co_u32_e32 v20, vcc, s10, v124
	ds_write_b128 v4, v[16:19] offset:4320
	s_nop 0
	v_addc_co_u32_e32 v21, vcc, 0, v125, vcc
	ds_read_b128 v[124:127], v4 offset:6912
	global_load_dwordx4 v[128:131], v[20:21], off offset:1968
	s_waitcnt vmcnt(1) lgkmcnt(2)
	v_mul_f64 v[16:17], v[10:11], v[14:15]
	v_mul_f64 v[18:19], v[8:9], v[14:15]
	v_fma_f64 v[16:17], v[8:9], v[12:13], -v[16:17]
	v_fmac_f64_e32 v[18:19], v[10:11], v[12:13]
	global_load_dwordx4 v[12:15], v[20:21], off offset:240
	ds_read_b128 v[8:11], v4 offset:5184
	ds_write_b128 v4, v[16:19] offset:4752
	s_waitcnt vmcnt(0) lgkmcnt(1)
	v_mul_f64 v[16:17], v[10:11], v[14:15]
	v_mul_f64 v[18:19], v[8:9], v[14:15]
	v_fma_f64 v[16:17], v[8:9], v[12:13], -v[16:17]
	v_fmac_f64_e32 v[18:19], v[10:11], v[12:13]
	global_load_dwordx4 v[12:15], v[20:21], off offset:672
	ds_read_b128 v[8:11], v4 offset:5616
	ds_write_b128 v4, v[16:19] offset:5184
	;; [unrolled: 8-line block ×4, first 2 shown]
	s_waitcnt vmcnt(0) lgkmcnt(1)
	v_mul_f64 v[16:17], v[10:11], v[14:15]
	v_mul_f64 v[18:19], v[8:9], v[14:15]
	v_fma_f64 v[16:17], v[8:9], v[12:13], -v[16:17]
	v_fmac_f64_e32 v[18:19], v[10:11], v[12:13]
	v_mul_f64 v[8:9], v[126:127], v[130:131]
	v_mul_f64 v[10:11], v[124:125], v[130:131]
	v_fma_f64 v[8:9], v[124:125], v[128:129], -v[8:9]
	v_fmac_f64_e32 v[10:11], v[126:127], v[128:129]
	ds_write_b128 v4, v[16:19] offset:6480
	ds_write_b128 v4, v[8:11] offset:6912
.LBB0_9:
	s_or_b64 exec, exec, s[0:1]
	s_waitcnt lgkmcnt(0)
	s_barrier
	s_and_saveexec_b64 s[0:1], s[2:3]
	s_cbranch_execz .LBB0_11
; %bb.10:
	ds_read_b128 v[104:107], v132
	ds_read_b128 v[88:91], v132 offset:432
	ds_read_b128 v[92:95], v132 offset:864
	;; [unrolled: 1-line block ×16, first 2 shown]
.LBB0_11:
	s_or_b64 exec, exec, s[0:1]
	s_waitcnt lgkmcnt(0)
	s_barrier
	s_and_saveexec_b64 s[0:1], s[2:3]
	s_cbranch_execz .LBB0_13
; %bb.12:
	v_accvgpr_write_b32 a36, v58
	v_accvgpr_write_b32 a37, v59
	;; [unrolled: 1-line block ×4, first 2 shown]
	v_accvgpr_read_b32 v63, a35
	v_accvgpr_read_b32 v62, a34
	;; [unrolled: 1-line block ×4, first 2 shown]
	v_accvgpr_write_b32 a32, v56
	v_accvgpr_write_b32 a33, v57
	v_accvgpr_read_b32 v59, a31
	v_accvgpr_read_b32 v58, a30
	v_accvgpr_read_b32 v57, a29
	v_accvgpr_read_b32 v56, a28
	v_accvgpr_write_b32 a28, v52
	v_accvgpr_write_b32 a29, v53
	v_accvgpr_write_b32 a30, v54
	v_accvgpr_write_b32 a31, v55
	v_accvgpr_read_b32 v55, a27
	v_accvgpr_read_b32 v54, a26
	v_accvgpr_read_b32 v53, a25
	v_accvgpr_read_b32 v52, a24
	v_accvgpr_write_b32 a24, v48
	v_accvgpr_write_b32 a25, v49
	;; [unrolled: 8-line block ×6, first 2 shown]
	v_accvgpr_write_b32 a10, v34
	v_accvgpr_write_b32 a11, v35
	v_accvgpr_read_b32 v35, a7
	v_accvgpr_read_b32 v33, a5
	;; [unrolled: 1-line block ×3, first 2 shown]
	s_mov_b32 s36, 0xacd6c6b4
	s_mov_b32 s40, 0x5d8e7cdc
	v_accvgpr_read_b32 v34, a6
	v_add_f64 v[228:229], v[88:89], -v[32:33]
	s_mov_b32 s37, 0xbfc7851a
	s_mov_b32 s30, 0x7faef3
	;; [unrolled: 1-line block ×3, first 2 shown]
	v_add_f64 v[226:227], v[92:93], -v[36:37]
	s_mov_b32 s41, 0x3fd71e95
	s_mov_b32 s26, 0x370991
	v_mul_f64 v[130:131], v[228:229], s[36:37]
	v_add_f64 v[204:205], v[90:91], v[34:35]
	s_mov_b32 s31, 0xbfef7484
	s_mov_b32 s46, 0x2a9d6da3
	v_add_f64 v[218:219], v[100:101], -v[40:41]
	s_mov_b32 s35, 0xbfe0d888
	s_mov_b32 s24, 0x910ea3b9
	v_mul_f64 v[128:129], v[226:227], s[40:41]
	v_add_f64 v[200:201], v[94:95], v[38:39]
	s_mov_b32 s27, 0x3fedd6d0
	v_fma_f64 v[126:127], s[30:31], v[204:205], v[130:131]
	v_accvgpr_write_b32 a40, v144
	v_add_f64 v[244:245], v[90:91], -v[34:35]
	s_mov_b32 s28, 0x6c9a05f6
	v_add_f64 v[206:207], v[116:117], -v[44:45]
	s_mov_b32 s47, 0x3fe58eea
	s_mov_b32 s20, 0x75d4884
	v_mul_f64 v[28:29], v[218:219], s[34:35]
	v_add_f64 v[196:197], v[102:103], v[42:43]
	s_mov_b32 s25, 0xbfeb34fa
	v_fma_f64 v[124:125], s[26:27], v[200:201], v[128:129]
	v_add_f64 v[126:127], v[106:107], v[126:127]
	v_add_f64 v[242:243], v[94:95], -v[38:39]
	v_accvgpr_write_b32 a41, v145
	v_accvgpr_write_b32 a42, v146
	;; [unrolled: 1-line block ×3, first 2 shown]
	v_add_f64 v[224:225], v[88:89], v[32:33]
	v_mul_f64 v[146:147], v[244:245], s[36:37]
	s_mov_b32 s38, 0x7c9e640b
	v_add_f64 v[202:203], v[120:121], -v[48:49]
	s_mov_b32 s29, 0xbfe9895b
	s_mov_b32 s18, 0x6ed5f1bb
	v_mul_f64 v[24:25], v[206:207], s[46:47]
	v_add_f64 v[192:193], v[118:119], v[46:47]
	s_mov_b32 s21, 0x3fe7a5f6
	v_fma_f64 v[30:31], s[24:25], v[196:197], v[28:29]
	v_add_f64 v[124:125], v[124:125], v[126:127]
	v_add_f64 v[240:241], v[102:103], -v[42:43]
	v_add_f64 v[222:223], v[92:93], v[36:37]
	v_accvgpr_write_b32 a3, v142
	v_mul_f64 v[142:143], v[242:243], s[40:41]
	v_fma_f64 v[148:149], v[224:225], s[30:31], -v[146:147]
	s_mov_b32 s22, 0x923c349f
	v_add_f64 v[198:199], v[112:113], -v[52:53]
	s_mov_b32 s39, 0x3feca52d
	s_mov_b32 s16, 0x2b2883cd
	v_mul_f64 v[20:21], v[202:203], s[28:29]
	v_add_f64 v[188:189], v[122:123], v[50:51]
	s_mov_b32 s19, 0xbfe348c8
	v_fma_f64 v[26:27], s[20:21], v[192:193], v[24:25]
	v_add_f64 v[30:31], v[30:31], v[124:125]
	v_add_f64 v[238:239], v[118:119], -v[46:47]
	v_add_f64 v[220:221], v[100:101], v[40:41]
	v_mul_f64 v[138:139], v[240:241], s[34:35]
	v_fma_f64 v[144:145], v[222:223], s[26:27], -v[142:143]
	v_add_f64 v[148:149], v[104:105], v[148:149]
	s_mov_b32 s50, 0xeb564b22
	v_add_f64 v[194:195], v[108:109], -v[56:57]
	s_mov_b32 s23, 0xbfeec746
	s_mov_b32 s14, 0xc61f0d01
	v_mul_f64 v[16:17], v[198:199], s[38:39]
	v_add_f64 v[186:187], v[114:115], v[54:55]
	s_mov_b32 s17, 0x3fdc86fa
	v_fma_f64 v[22:23], s[18:19], v[188:189], v[20:21]
	v_add_f64 v[26:27], v[26:27], v[30:31]
	v_add_f64 v[236:237], v[122:123], -v[50:51]
	v_add_f64 v[216:217], v[116:117], v[44:45]
	v_mul_f64 v[134:135], v[238:239], s[46:47]
	v_fma_f64 v[140:141], v[220:221], s[24:25], -v[138:139]
	v_add_f64 v[144:145], v[144:145], v[148:149]
	v_add_f64 v[190:191], v[96:97], -v[60:61]
	s_mov_b32 s51, 0x3fefdd0d
	s_mov_b32 s10, 0x3259b75e
	v_mul_f64 v[12:13], v[194:195], s[22:23]
	v_add_f64 v[184:185], v[110:111], v[58:59]
	s_mov_b32 s15, 0xbfd183b1
	v_fma_f64 v[18:19], s[16:17], v[186:187], v[16:17]
	v_add_f64 v[22:23], v[22:23], v[26:27]
	v_add_f64 v[234:235], v[114:115], -v[54:55]
	v_add_f64 v[214:215], v[120:121], v[48:49]
	v_accvgpr_write_b32 a4, v132
	v_mul_f64 v[132:133], v[236:237], s[28:29]
	v_fma_f64 v[136:137], v[216:217], s[20:21], -v[134:135]
	v_add_f64 v[140:141], v[140:141], v[144:145]
	v_mul_f64 v[8:9], v[190:191], s[50:51]
	v_add_f64 v[182:183], v[98:99], v[62:63]
	s_mov_b32 s11, 0x3fb79ee6
	v_fma_f64 v[14:15], s[14:15], v[184:185], v[12:13]
	v_add_f64 v[18:19], v[18:19], v[22:23]
	v_add_f64 v[232:233], v[110:111], -v[58:59]
	v_add_f64 v[212:213], v[112:113], v[52:53]
	v_mul_f64 v[26:27], v[234:235], s[38:39]
	v_fma_f64 v[124:125], v[214:215], s[18:19], -v[132:133]
	v_add_f64 v[136:137], v[136:137], v[140:141]
	v_fma_f64 v[10:11], s[10:11], v[182:183], v[8:9]
	v_add_f64 v[14:15], v[14:15], v[18:19]
	v_add_f64 v[230:231], v[98:99], -v[62:63]
	v_add_f64 v[210:211], v[108:109], v[56:57]
	v_mul_f64 v[18:19], v[232:233], s[22:23]
	v_fma_f64 v[30:31], v[212:213], s[16:17], -v[26:27]
	v_add_f64 v[124:125], v[124:125], v[136:137]
	v_add_f64 v[2:3], v[10:11], v[14:15]
	;; [unrolled: 1-line block ×3, first 2 shown]
	v_mul_f64 v[10:11], v[230:231], s[50:51]
	v_fma_f64 v[22:23], v[210:211], s[14:15], -v[18:19]
	v_add_f64 v[30:31], v[30:31], v[124:125]
	v_fma_f64 v[14:15], v[208:209], s[10:11], -v[10:11]
	v_add_f64 v[22:23], v[22:23], v[30:31]
	v_add_f64 v[0:1], v[14:15], v[22:23]
	v_fma_f64 v[22:23], v[196:197], s[24:25], -v[28:29]
	v_fma_f64 v[28:29], v[204:205], s[30:31], -v[130:131]
	;; [unrolled: 1-line block ×6, first 2 shown]
	v_add_f64 v[28:29], v[106:107], v[28:29]
	v_add_f64 v[24:25], v[24:25], v[28:29]
	;; [unrolled: 1-line block ×5, first 2 shown]
	v_fma_f64 v[12:13], v[184:185], s[14:15], -v[12:13]
	v_add_f64 v[14:15], v[14:15], v[16:17]
	v_fma_f64 v[8:9], v[182:183], s[10:11], -v[8:9]
	v_add_f64 v[12:13], v[12:13], v[14:15]
	v_fmac_f64_e32 v[146:147], s[30:31], v[224:225]
	v_add_f64 v[130:131], v[8:9], v[12:13]
	v_fmac_f64_e32 v[142:143], s[26:27], v[222:223]
	;; [unrolled: 2-line block ×4, first 2 shown]
	v_add_f64 v[8:9], v[138:139], v[8:9]
	v_mul_f64 v[138:139], v[228:229], s[34:35]
	v_fmac_f64_e32 v[132:133], s[18:19], v[214:215]
	v_add_f64 v[8:9], v[134:135], v[8:9]
	s_mov_b32 s45, 0xbfefdd0d
	s_mov_b32 s44, s50
	v_mul_f64 v[136:137], v[226:227], s[38:39]
	v_fma_f64 v[134:135], s[24:25], v[204:205], v[138:139]
	v_add_f64 v[8:9], v[132:133], v[8:9]
	s_mov_b32 s57, 0x3fe9895b
	s_mov_b32 s56, s28
	v_mul_f64 v[28:29], v[218:219], s[44:45]
	v_fma_f64 v[132:133], s[16:17], v[200:201], v[136:137]
	v_add_f64 v[134:135], v[106:107], v[134:135]
	v_mul_f64 v[154:155], v[244:245], s[34:35]
	v_fmac_f64_e32 v[26:27], s[16:17], v[212:213]
	s_mov_b32 s43, 0xbfd71e95
	s_mov_b32 s42, s40
	v_mul_f64 v[24:25], v[206:207], s[56:57]
	v_fma_f64 v[30:31], s[10:11], v[196:197], v[28:29]
	v_add_f64 v[132:133], v[132:133], v[134:135]
	v_mul_f64 v[150:151], v[242:243], s[38:39]
	v_fma_f64 v[156:157], v[224:225], s[24:25], -v[154:155]
	v_add_f64 v[8:9], v[26:27], v[8:9]
	v_mul_f64 v[20:21], v[202:203], s[42:43]
	v_fma_f64 v[26:27], s[18:19], v[192:193], v[24:25]
	v_add_f64 v[30:31], v[30:31], v[132:133]
	v_mul_f64 v[146:147], v[240:241], s[44:45]
	v_fma_f64 v[152:153], v[222:223], s[16:17], -v[150:151]
	v_add_f64 v[156:157], v[104:105], v[156:157]
	v_fmac_f64_e32 v[18:19], s[14:15], v[210:211]
	v_mul_f64 v[16:17], v[198:199], s[36:37]
	v_fma_f64 v[22:23], s[26:27], v[188:189], v[20:21]
	v_add_f64 v[26:27], v[26:27], v[30:31]
	v_mul_f64 v[142:143], v[238:239], s[56:57]
	v_fma_f64 v[148:149], v[220:221], s[10:11], -v[146:147]
	v_add_f64 v[152:153], v[152:153], v[156:157]
	v_fmac_f64_e32 v[10:11], s[10:11], v[208:209]
	v_add_f64 v[8:9], v[18:19], v[8:9]
	v_mul_f64 v[12:13], v[194:195], s[46:47]
	v_fma_f64 v[18:19], s[30:31], v[186:187], v[16:17]
	v_add_f64 v[22:23], v[22:23], v[26:27]
	v_mul_f64 v[140:141], v[236:237], s[42:43]
	v_fma_f64 v[144:145], v[216:217], s[18:19], -v[142:143]
	v_add_f64 v[148:149], v[148:149], v[152:153]
	v_add_f64 v[128:129], v[10:11], v[8:9]
	v_mul_f64 v[8:9], v[190:191], s[22:23]
	v_fma_f64 v[14:15], s[20:21], v[184:185], v[12:13]
	v_add_f64 v[18:19], v[18:19], v[22:23]
	v_mul_f64 v[26:27], v[234:235], s[36:37]
	v_fma_f64 v[132:133], v[214:215], s[26:27], -v[140:141]
	v_add_f64 v[144:145], v[144:145], v[148:149]
	v_fma_f64 v[10:11], s[14:15], v[182:183], v[8:9]
	v_add_f64 v[14:15], v[14:15], v[18:19]
	v_mul_f64 v[18:19], v[232:233], s[46:47]
	v_fma_f64 v[30:31], v[212:213], s[30:31], -v[26:27]
	v_add_f64 v[132:133], v[132:133], v[144:145]
	v_add_f64 v[134:135], v[10:11], v[14:15]
	v_mul_f64 v[10:11], v[230:231], s[22:23]
	v_fma_f64 v[22:23], v[210:211], s[20:21], -v[18:19]
	v_add_f64 v[30:31], v[30:31], v[132:133]
	v_fma_f64 v[14:15], v[208:209], s[14:15], -v[10:11]
	v_add_f64 v[22:23], v[22:23], v[30:31]
	v_add_f64 v[132:133], v[14:15], v[22:23]
	v_fma_f64 v[22:23], v[196:197], s[10:11], -v[28:29]
	v_fma_f64 v[28:29], v[204:205], s[24:25], -v[138:139]
	;; [unrolled: 1-line block ×6, first 2 shown]
	v_add_f64 v[28:29], v[106:107], v[28:29]
	v_add_f64 v[24:25], v[24:25], v[28:29]
	;; [unrolled: 1-line block ×5, first 2 shown]
	v_fma_f64 v[12:13], v[184:185], s[20:21], -v[12:13]
	v_add_f64 v[14:15], v[14:15], v[16:17]
	v_fma_f64 v[8:9], v[182:183], s[14:15], -v[8:9]
	v_add_f64 v[12:13], v[12:13], v[14:15]
	v_fmac_f64_e32 v[154:155], s[24:25], v[224:225]
	v_add_f64 v[138:139], v[8:9], v[12:13]
	v_fmac_f64_e32 v[150:151], s[16:17], v[222:223]
	;; [unrolled: 2-line block ×4, first 2 shown]
	v_add_f64 v[8:9], v[146:147], v[8:9]
	s_mov_b32 s55, 0x3feec746
	s_mov_b32 s54, s22
	v_mul_f64 v[146:147], v[228:229], s[28:29]
	v_fmac_f64_e32 v[140:141], s[26:27], v[214:215]
	v_add_f64 v[8:9], v[142:143], v[8:9]
	v_mul_f64 v[144:145], v[226:227], s[54:55]
	v_fma_f64 v[142:143], s[18:19], v[204:205], v[146:147]
	v_add_f64 v[8:9], v[140:141], v[8:9]
	v_mul_f64 v[28:29], v[218:219], s[42:43]
	v_fma_f64 v[140:141], s[14:15], v[200:201], v[144:145]
	v_add_f64 v[142:143], v[106:107], v[142:143]
	v_mul_f64 v[162:163], v[244:245], s[28:29]
	v_fmac_f64_e32 v[26:27], s[30:31], v[212:213]
	v_mul_f64 v[24:25], v[206:207], s[34:35]
	v_fma_f64 v[30:31], s[26:27], v[196:197], v[28:29]
	v_add_f64 v[140:141], v[140:141], v[142:143]
	v_mul_f64 v[158:159], v[242:243], s[54:55]
	v_fma_f64 v[164:165], v[224:225], s[18:19], -v[162:163]
	v_add_f64 v[8:9], v[26:27], v[8:9]
	s_mov_b32 s49, 0xbfe58eea
	s_mov_b32 s48, s46
	v_mul_f64 v[20:21], v[202:203], s[50:51]
	v_fma_f64 v[26:27], s[24:25], v[192:193], v[24:25]
	v_add_f64 v[30:31], v[30:31], v[140:141]
	v_mul_f64 v[154:155], v[240:241], s[42:43]
	v_fma_f64 v[160:161], v[222:223], s[14:15], -v[158:159]
	v_add_f64 v[164:165], v[104:105], v[164:165]
	v_fmac_f64_e32 v[18:19], s[20:21], v[210:211]
	v_mul_f64 v[16:17], v[198:199], s[48:49]
	v_fma_f64 v[22:23], s[10:11], v[188:189], v[20:21]
	v_add_f64 v[26:27], v[26:27], v[30:31]
	v_mul_f64 v[150:151], v[238:239], s[34:35]
	v_fma_f64 v[156:157], v[220:221], s[26:27], -v[154:155]
	v_add_f64 v[160:161], v[160:161], v[164:165]
	v_fmac_f64_e32 v[10:11], s[14:15], v[208:209]
	v_add_f64 v[8:9], v[18:19], v[8:9]
	v_mul_f64 v[12:13], v[194:195], s[36:37]
	v_fma_f64 v[18:19], s[20:21], v[186:187], v[16:17]
	v_add_f64 v[22:23], v[22:23], v[26:27]
	v_mul_f64 v[148:149], v[236:237], s[50:51]
	v_fma_f64 v[152:153], v[216:217], s[24:25], -v[150:151]
	v_add_f64 v[156:157], v[156:157], v[160:161]
	v_add_f64 v[136:137], v[10:11], v[8:9]
	v_mul_f64 v[8:9], v[190:191], s[38:39]
	v_fma_f64 v[14:15], s[30:31], v[184:185], v[12:13]
	v_add_f64 v[18:19], v[18:19], v[22:23]
	v_mul_f64 v[26:27], v[234:235], s[48:49]
	v_fma_f64 v[140:141], v[214:215], s[10:11], -v[148:149]
	v_add_f64 v[152:153], v[152:153], v[156:157]
	v_fma_f64 v[10:11], s[16:17], v[182:183], v[8:9]
	v_add_f64 v[14:15], v[14:15], v[18:19]
	v_mul_f64 v[18:19], v[232:233], s[36:37]
	v_fma_f64 v[30:31], v[212:213], s[20:21], -v[26:27]
	v_add_f64 v[140:141], v[140:141], v[152:153]
	v_add_f64 v[142:143], v[10:11], v[14:15]
	v_mul_f64 v[10:11], v[230:231], s[38:39]
	v_fma_f64 v[22:23], v[210:211], s[30:31], -v[18:19]
	v_add_f64 v[30:31], v[30:31], v[140:141]
	v_fma_f64 v[14:15], v[208:209], s[16:17], -v[10:11]
	v_add_f64 v[22:23], v[22:23], v[30:31]
	v_add_f64 v[140:141], v[14:15], v[22:23]
	v_fma_f64 v[22:23], v[196:197], s[26:27], -v[28:29]
	v_fma_f64 v[28:29], v[204:205], s[18:19], -v[146:147]
	;; [unrolled: 1-line block ×6, first 2 shown]
	v_add_f64 v[28:29], v[106:107], v[28:29]
	v_add_f64 v[24:25], v[24:25], v[28:29]
	;; [unrolled: 1-line block ×5, first 2 shown]
	v_fma_f64 v[12:13], v[184:185], s[30:31], -v[12:13]
	v_add_f64 v[14:15], v[14:15], v[16:17]
	v_fma_f64 v[8:9], v[182:183], s[16:17], -v[8:9]
	v_add_f64 v[12:13], v[12:13], v[14:15]
	v_fmac_f64_e32 v[162:163], s[18:19], v[224:225]
	v_add_f64 v[146:147], v[8:9], v[12:13]
	v_fmac_f64_e32 v[158:159], s[14:15], v[222:223]
	;; [unrolled: 2-line block ×4, first 2 shown]
	v_add_f64 v[8:9], v[154:155], v[8:9]
	s_mov_b32 s59, 0x3fe0d888
	s_mov_b32 s58, s34
	v_mul_f64 v[154:155], v[228:229], s[22:23]
	v_fmac_f64_e32 v[148:149], s[10:11], v[214:215]
	v_add_f64 v[8:9], v[150:151], v[8:9]
	v_mul_f64 v[152:153], v[226:227], s[58:59]
	v_fma_f64 v[150:151], s[14:15], v[204:205], v[154:155]
	v_add_f64 v[8:9], v[148:149], v[8:9]
	s_mov_b32 s53, 0xbfeca52d
	s_mov_b32 s52, s38
	v_mul_f64 v[28:29], v[218:219], s[46:47]
	v_fma_f64 v[148:149], s[24:25], v[200:201], v[152:153]
	v_add_f64 v[150:151], v[106:107], v[150:151]
	v_mul_f64 v[170:171], v[244:245], s[22:23]
	v_fmac_f64_e32 v[26:27], s[20:21], v[212:213]
	v_mul_f64 v[24:25], v[206:207], s[52:53]
	v_fma_f64 v[30:31], s[20:21], v[196:197], v[28:29]
	v_add_f64 v[148:149], v[148:149], v[150:151]
	v_mul_f64 v[166:167], v[242:243], s[58:59]
	v_fma_f64 v[172:173], v[224:225], s[14:15], -v[170:171]
	v_add_f64 v[8:9], v[26:27], v[8:9]
	v_mul_f64 v[20:21], v[202:203], s[36:37]
	v_fma_f64 v[26:27], s[16:17], v[192:193], v[24:25]
	v_add_f64 v[30:31], v[30:31], v[148:149]
	v_mul_f64 v[162:163], v[240:241], s[46:47]
	v_fma_f64 v[168:169], v[222:223], s[24:25], -v[166:167]
	v_add_f64 v[172:173], v[104:105], v[172:173]
	v_fmac_f64_e32 v[18:19], s[30:31], v[210:211]
	v_mul_f64 v[16:17], v[198:199], s[50:51]
	v_fma_f64 v[22:23], s[30:31], v[188:189], v[20:21]
	v_add_f64 v[26:27], v[26:27], v[30:31]
	v_mul_f64 v[158:159], v[238:239], s[52:53]
	v_fma_f64 v[164:165], v[220:221], s[20:21], -v[162:163]
	v_add_f64 v[168:169], v[168:169], v[172:173]
	v_fmac_f64_e32 v[10:11], s[16:17], v[208:209]
	v_add_f64 v[8:9], v[18:19], v[8:9]
	v_mul_f64 v[12:13], v[194:195], s[42:43]
	v_fma_f64 v[18:19], s[10:11], v[186:187], v[16:17]
	v_add_f64 v[22:23], v[22:23], v[26:27]
	v_mul_f64 v[156:157], v[236:237], s[36:37]
	v_fma_f64 v[160:161], v[216:217], s[16:17], -v[158:159]
	v_add_f64 v[164:165], v[164:165], v[168:169]
	v_add_f64 v[144:145], v[10:11], v[8:9]
	v_mul_f64 v[8:9], v[190:191], s[28:29]
	v_fma_f64 v[14:15], s[26:27], v[184:185], v[12:13]
	v_add_f64 v[18:19], v[18:19], v[22:23]
	v_mul_f64 v[26:27], v[234:235], s[50:51]
	v_fma_f64 v[148:149], v[214:215], s[30:31], -v[156:157]
	v_add_f64 v[160:161], v[160:161], v[164:165]
	v_fma_f64 v[10:11], s[18:19], v[182:183], v[8:9]
	v_add_f64 v[14:15], v[14:15], v[18:19]
	v_mul_f64 v[18:19], v[232:233], s[42:43]
	v_fma_f64 v[30:31], v[212:213], s[10:11], -v[26:27]
	v_add_f64 v[148:149], v[148:149], v[160:161]
	v_add_f64 v[150:151], v[10:11], v[14:15]
	v_mul_f64 v[10:11], v[230:231], s[28:29]
	v_fma_f64 v[22:23], v[210:211], s[26:27], -v[18:19]
	v_add_f64 v[30:31], v[30:31], v[148:149]
	v_fma_f64 v[14:15], v[208:209], s[18:19], -v[10:11]
	v_add_f64 v[22:23], v[22:23], v[30:31]
	v_add_f64 v[148:149], v[14:15], v[22:23]
	v_fma_f64 v[22:23], v[196:197], s[20:21], -v[28:29]
	v_fma_f64 v[28:29], v[204:205], s[14:15], -v[154:155]
	;; [unrolled: 1-line block ×6, first 2 shown]
	v_add_f64 v[28:29], v[106:107], v[28:29]
	v_add_f64 v[24:25], v[24:25], v[28:29]
	;; [unrolled: 1-line block ×5, first 2 shown]
	v_fma_f64 v[12:13], v[184:185], s[26:27], -v[12:13]
	v_add_f64 v[14:15], v[14:15], v[16:17]
	v_fma_f64 v[8:9], v[182:183], s[18:19], -v[8:9]
	v_add_f64 v[12:13], v[12:13], v[14:15]
	v_fmac_f64_e32 v[170:171], s[14:15], v[224:225]
	v_add_f64 v[154:155], v[8:9], v[12:13]
	v_fmac_f64_e32 v[166:167], s[24:25], v[222:223]
	;; [unrolled: 2-line block ×4, first 2 shown]
	v_add_f64 v[8:9], v[162:163], v[8:9]
	v_mul_f64 v[162:163], v[228:229], s[44:45]
	v_fmac_f64_e32 v[156:157], s[30:31], v[214:215]
	v_add_f64 v[8:9], v[158:159], v[8:9]
	v_mul_f64 v[160:161], v[226:227], s[36:37]
	v_fma_f64 v[158:159], s[10:11], v[204:205], v[162:163]
	v_add_f64 v[8:9], v[156:157], v[8:9]
	v_mul_f64 v[28:29], v[218:219], s[54:55]
	v_fma_f64 v[156:157], s[30:31], v[200:201], v[160:161]
	v_add_f64 v[158:159], v[106:107], v[158:159]
	v_mul_f64 v[180:181], v[244:245], s[44:45]
	v_fmac_f64_e32 v[26:27], s[10:11], v[212:213]
	v_mul_f64 v[24:25], v[206:207], s[40:41]
	v_fma_f64 v[30:31], s[14:15], v[196:197], v[28:29]
	v_add_f64 v[156:157], v[156:157], v[158:159]
	v_mul_f64 v[174:175], v[242:243], s[36:37]
	v_fma_f64 v[246:247], v[224:225], s[10:11], -v[180:181]
	v_add_f64 v[8:9], v[26:27], v[8:9]
	v_mul_f64 v[20:21], v[202:203], s[52:53]
	v_fma_f64 v[26:27], s[26:27], v[192:193], v[24:25]
	v_add_f64 v[30:31], v[30:31], v[156:157]
	v_mul_f64 v[170:171], v[240:241], s[54:55]
	v_fma_f64 v[178:179], v[222:223], s[30:31], -v[174:175]
	v_add_f64 v[246:247], v[104:105], v[246:247]
	v_fmac_f64_e32 v[18:19], s[26:27], v[210:211]
	v_mul_f64 v[16:17], v[198:199], s[34:35]
	v_fma_f64 v[22:23], s[16:17], v[188:189], v[20:21]
	v_add_f64 v[26:27], v[26:27], v[30:31]
	v_mul_f64 v[166:167], v[238:239], s[40:41]
	v_fma_f64 v[172:173], v[220:221], s[14:15], -v[170:171]
	v_add_f64 v[178:179], v[178:179], v[246:247]
	v_fmac_f64_e32 v[10:11], s[18:19], v[208:209]
	v_add_f64 v[8:9], v[18:19], v[8:9]
	v_mul_f64 v[12:13], v[194:195], s[56:57]
	v_fma_f64 v[18:19], s[24:25], v[186:187], v[16:17]
	v_add_f64 v[22:23], v[22:23], v[26:27]
	v_mul_f64 v[164:165], v[236:237], s[52:53]
	v_fma_f64 v[168:169], v[216:217], s[26:27], -v[166:167]
	v_add_f64 v[172:173], v[172:173], v[178:179]
	v_add_f64 v[152:153], v[10:11], v[8:9]
	v_mul_f64 v[8:9], v[190:191], s[46:47]
	v_fma_f64 v[14:15], s[18:19], v[184:185], v[12:13]
	v_add_f64 v[18:19], v[18:19], v[22:23]
	v_mul_f64 v[26:27], v[234:235], s[34:35]
	v_fma_f64 v[156:157], v[214:215], s[16:17], -v[164:165]
	v_add_f64 v[168:169], v[168:169], v[172:173]
	v_fma_f64 v[10:11], s[20:21], v[182:183], v[8:9]
	v_add_f64 v[14:15], v[14:15], v[18:19]
	v_mul_f64 v[18:19], v[232:233], s[56:57]
	v_fma_f64 v[30:31], v[212:213], s[24:25], -v[26:27]
	v_add_f64 v[156:157], v[156:157], v[168:169]
	v_add_f64 v[158:159], v[10:11], v[14:15]
	v_mul_f64 v[10:11], v[230:231], s[46:47]
	v_fma_f64 v[22:23], v[210:211], s[18:19], -v[18:19]
	v_add_f64 v[30:31], v[30:31], v[156:157]
	v_fma_f64 v[14:15], v[208:209], s[20:21], -v[10:11]
	v_add_f64 v[22:23], v[22:23], v[30:31]
	v_add_f64 v[156:157], v[14:15], v[22:23]
	v_fma_f64 v[22:23], v[196:197], s[14:15], -v[28:29]
	v_fma_f64 v[28:29], v[204:205], s[10:11], -v[162:163]
	;; [unrolled: 1-line block ×6, first 2 shown]
	v_add_f64 v[28:29], v[106:107], v[28:29]
	v_add_f64 v[24:25], v[24:25], v[28:29]
	;; [unrolled: 1-line block ×5, first 2 shown]
	v_fma_f64 v[12:13], v[184:185], s[18:19], -v[12:13]
	v_add_f64 v[14:15], v[14:15], v[16:17]
	v_fma_f64 v[8:9], v[182:183], s[20:21], -v[8:9]
	v_add_f64 v[12:13], v[12:13], v[14:15]
	v_fmac_f64_e32 v[180:181], s[10:11], v[224:225]
	v_add_f64 v[162:163], v[8:9], v[12:13]
	v_fmac_f64_e32 v[174:175], s[30:31], v[222:223]
	;; [unrolled: 2-line block ×4, first 2 shown]
	v_add_f64 v[8:9], v[170:171], v[8:9]
	v_mul_f64 v[170:171], v[228:229], s[52:53]
	v_fmac_f64_e32 v[164:165], s[16:17], v[214:215]
	v_add_f64 v[8:9], v[166:167], v[8:9]
	s_mov_b32 s51, 0x3fc7851a
	s_mov_b32 s50, s36
	v_mul_f64 v[168:169], v[226:227], s[28:29]
	v_fma_f64 v[166:167], s[16:17], v[204:205], v[170:171]
	v_add_f64 v[8:9], v[164:165], v[8:9]
	v_mul_f64 v[28:29], v[218:219], s[50:51]
	v_fma_f64 v[164:165], s[18:19], v[200:201], v[168:169]
	v_add_f64 v[166:167], v[106:107], v[166:167]
	v_mul_f64 v[252:253], v[244:245], s[52:53]
	v_fmac_f64_e32 v[26:27], s[24:25], v[212:213]
	v_mul_f64 v[24:25], v[206:207], s[54:55]
	v_fma_f64 v[30:31], s[30:31], v[196:197], v[28:29]
	v_add_f64 v[164:165], v[164:165], v[166:167]
	v_mul_f64 v[248:249], v[242:243], s[28:29]
	v_fma_f64 v[254:255], v[224:225], s[16:17], -v[252:253]
	v_add_f64 v[8:9], v[26:27], v[8:9]
	v_mul_f64 v[20:21], v[202:203], s[46:47]
	v_fma_f64 v[26:27], s[14:15], v[192:193], v[24:25]
	v_add_f64 v[30:31], v[30:31], v[164:165]
	v_mul_f64 v[180:181], v[240:241], s[50:51]
	v_fma_f64 v[250:251], v[222:223], s[18:19], -v[248:249]
	v_add_f64 v[254:255], v[104:105], v[254:255]
	v_fmac_f64_e32 v[18:19], s[18:19], v[210:211]
	v_mul_f64 v[16:17], v[198:199], s[42:43]
	v_fma_f64 v[22:23], s[20:21], v[188:189], v[20:21]
	v_add_f64 v[26:27], v[26:27], v[30:31]
	v_mul_f64 v[178:179], v[238:239], s[54:55]
	v_fma_f64 v[246:247], v[220:221], s[30:31], -v[180:181]
	v_add_f64 v[250:251], v[250:251], v[254:255]
	v_fmac_f64_e32 v[10:11], s[20:21], v[208:209]
	v_add_f64 v[8:9], v[18:19], v[8:9]
	v_mul_f64 v[12:13], v[194:195], s[44:45]
	v_fma_f64 v[18:19], s[26:27], v[186:187], v[16:17]
	v_add_f64 v[22:23], v[22:23], v[26:27]
	v_mul_f64 v[172:173], v[236:237], s[46:47]
	v_fma_f64 v[174:175], v[216:217], s[14:15], -v[178:179]
	v_add_f64 v[246:247], v[246:247], v[250:251]
	v_add_f64 v[160:161], v[10:11], v[8:9]
	v_mul_f64 v[8:9], v[190:191], s[34:35]
	v_fma_f64 v[14:15], s[10:11], v[184:185], v[12:13]
	v_add_f64 v[18:19], v[18:19], v[22:23]
	v_mul_f64 v[26:27], v[234:235], s[42:43]
	v_fma_f64 v[164:165], v[214:215], s[20:21], -v[172:173]
	v_add_f64 v[174:175], v[174:175], v[246:247]
	v_fma_f64 v[10:11], s[24:25], v[182:183], v[8:9]
	v_add_f64 v[14:15], v[14:15], v[18:19]
	v_mul_f64 v[18:19], v[232:233], s[44:45]
	v_fma_f64 v[30:31], v[212:213], s[26:27], -v[26:27]
	v_add_f64 v[164:165], v[164:165], v[174:175]
	v_add_f64 v[166:167], v[10:11], v[14:15]
	v_mul_f64 v[10:11], v[230:231], s[34:35]
	v_fma_f64 v[22:23], v[210:211], s[10:11], -v[18:19]
	v_add_f64 v[30:31], v[30:31], v[164:165]
	v_fma_f64 v[14:15], v[208:209], s[24:25], -v[10:11]
	v_add_f64 v[22:23], v[22:23], v[30:31]
	v_add_f64 v[164:165], v[14:15], v[22:23]
	v_fma_f64 v[22:23], v[196:197], s[30:31], -v[28:29]
	v_fma_f64 v[28:29], v[204:205], s[16:17], -v[170:171]
	;; [unrolled: 1-line block ×6, first 2 shown]
	v_add_f64 v[28:29], v[106:107], v[28:29]
	v_add_f64 v[24:25], v[24:25], v[28:29]
	;; [unrolled: 1-line block ×5, first 2 shown]
	v_fma_f64 v[12:13], v[184:185], s[10:11], -v[12:13]
	v_add_f64 v[14:15], v[14:15], v[16:17]
	v_fma_f64 v[8:9], v[182:183], s[24:25], -v[8:9]
	v_add_f64 v[12:13], v[12:13], v[14:15]
	v_fmac_f64_e32 v[252:253], s[16:17], v[224:225]
	v_add_f64 v[174:175], v[8:9], v[12:13]
	v_fmac_f64_e32 v[248:249], s[18:19], v[222:223]
	;; [unrolled: 2-line block ×4, first 2 shown]
	v_add_f64 v[8:9], v[180:181], v[8:9]
	v_mul_f64 v[180:181], v[228:229], s[48:49]
	v_add_f64 v[8:9], v[178:179], v[8:9]
	v_mul_f64 v[178:179], v[226:227], s[44:45]
	v_fma_f64 v[170:171], s[20:21], v[204:205], v[180:181]
	v_accvgpr_write_b32 a47, v3
	v_fmac_f64_e32 v[172:173], s[20:21], v[214:215]
	v_mul_f64 v[28:29], v[218:219], s[28:29]
	v_fma_f64 v[168:169], s[10:11], v[200:201], v[178:179]
	v_add_f64 v[170:171], v[106:107], v[170:171]
	v_mul_f64 v[6:7], v[244:245], s[48:49]
	v_accvgpr_write_b32 a46, v2
	v_accvgpr_write_b32 a45, v1
	;; [unrolled: 1-line block ×3, first 2 shown]
	v_fmac_f64_e32 v[26:27], s[26:27], v[212:213]
	v_add_f64 v[8:9], v[172:173], v[8:9]
	v_mul_f64 v[24:25], v[206:207], s[36:37]
	v_fma_f64 v[30:31], s[18:19], v[196:197], v[28:29]
	v_add_f64 v[168:169], v[168:169], v[170:171]
	v_mul_f64 v[0:1], v[242:243], s[44:45]
	v_fma_f64 v[124:125], v[224:225], s[20:21], -v[6:7]
	v_add_f64 v[8:9], v[26:27], v[8:9]
	v_mul_f64 v[20:21], v[202:203], s[58:59]
	v_fma_f64 v[26:27], s[30:31], v[192:193], v[24:25]
	v_add_f64 v[30:31], v[30:31], v[168:169]
	v_mul_f64 v[252:253], v[240:241], s[28:29]
	v_fma_f64 v[2:3], v[222:223], s[10:11], -v[0:1]
	v_add_f64 v[124:125], v[104:105], v[124:125]
	v_fmac_f64_e32 v[18:19], s[10:11], v[210:211]
	v_mul_f64 v[16:17], v[198:199], s[54:55]
	v_fma_f64 v[22:23], s[24:25], v[188:189], v[20:21]
	v_add_f64 v[26:27], v[26:27], v[30:31]
	v_mul_f64 v[248:249], v[238:239], s[36:37]
	v_fma_f64 v[254:255], v[220:221], s[18:19], -v[252:253]
	v_add_f64 v[2:3], v[2:3], v[124:125]
	v_fmac_f64_e32 v[10:11], s[24:25], v[208:209]
	v_add_f64 v[8:9], v[18:19], v[8:9]
	v_mul_f64 v[12:13], v[194:195], s[38:39]
	v_fma_f64 v[18:19], s[14:15], v[186:187], v[16:17]
	v_add_f64 v[22:23], v[22:23], v[26:27]
	v_mul_f64 v[246:247], v[236:237], s[58:59]
	v_fma_f64 v[250:251], v[216:217], s[30:31], -v[248:249]
	v_add_f64 v[2:3], v[254:255], v[2:3]
	v_add_f64 v[172:173], v[10:11], v[8:9]
	v_mul_f64 v[8:9], v[190:191], s[40:41]
	v_fma_f64 v[14:15], s[16:17], v[184:185], v[12:13]
	v_add_f64 v[18:19], v[18:19], v[22:23]
	v_mul_f64 v[26:27], v[234:235], s[54:55]
	v_fma_f64 v[168:169], v[214:215], s[24:25], -v[246:247]
	v_add_f64 v[2:3], v[250:251], v[2:3]
	v_fma_f64 v[10:11], s[26:27], v[182:183], v[8:9]
	v_add_f64 v[14:15], v[14:15], v[18:19]
	v_mul_f64 v[18:19], v[232:233], s[38:39]
	v_fma_f64 v[30:31], v[212:213], s[14:15], -v[26:27]
	v_add_f64 v[2:3], v[168:169], v[2:3]
	v_add_f64 v[170:171], v[10:11], v[14:15]
	v_mul_f64 v[14:15], v[230:231], s[40:41]
	v_fma_f64 v[22:23], v[210:211], s[16:17], -v[18:19]
	v_add_f64 v[2:3], v[30:31], v[2:3]
	v_fma_f64 v[10:11], v[208:209], s[26:27], -v[14:15]
	v_add_f64 v[2:3], v[22:23], v[2:3]
	v_add_f64 v[168:169], v[10:11], v[2:3]
	v_fma_f64 v[10:11], v[186:187], s[14:15], -v[16:17]
	v_fma_f64 v[16:17], v[192:193], s[30:31], -v[24:25]
	;; [unrolled: 1-line block ×4, first 2 shown]
	v_add_f64 v[24:25], v[106:107], v[24:25]
	v_fma_f64 v[2:3], v[182:183], s[26:27], -v[8:9]
	v_fma_f64 v[8:9], v[184:185], s[16:17], -v[12:13]
	;; [unrolled: 1-line block ×4, first 2 shown]
	v_add_f64 v[22:23], v[22:23], v[24:25]
	v_add_f64 v[20:21], v[20:21], v[22:23]
	;; [unrolled: 1-line block ×6, first 2 shown]
	v_fmac_f64_e32 v[6:7], s[20:21], v[224:225]
	v_add_f64 v[10:11], v[2:3], v[8:9]
	v_fmac_f64_e32 v[0:1], s[10:11], v[222:223]
	v_add_f64 v[2:3], v[104:105], v[6:7]
	;; [unrolled: 2-line block ×5, first 2 shown]
	v_mul_f64 v[126:127], v[228:229], s[42:43]
	v_fmac_f64_e32 v[26:27], s[14:15], v[212:213]
	v_add_f64 v[0:1], v[246:247], v[0:1]
	v_mul_f64 v[30:31], v[226:227], s[48:49]
	v_fma_f64 v[178:179], s[26:27], v[204:205], v[126:127]
	v_add_f64 v[0:1], v[26:27], v[0:1]
	v_mul_f64 v[26:27], v[218:219], s[52:53]
	v_fma_f64 v[124:125], s[20:21], v[200:201], v[30:31]
	v_add_f64 v[178:179], v[106:107], v[178:179]
	v_mul_f64 v[226:227], v[244:245], s[42:43]
	v_fmac_f64_e32 v[18:19], s[16:17], v[210:211]
	v_mul_f64 v[22:23], v[206:207], s[44:45]
	v_fma_f64 v[28:29], s[16:17], v[196:197], v[26:27]
	v_add_f64 v[124:125], v[124:125], v[178:179]
	v_mul_f64 v[206:207], v[242:243], s[48:49]
	v_fma_f64 v[228:229], v[224:225], s[26:27], -v[226:227]
	v_fmac_f64_e32 v[14:15], s[26:27], v[208:209]
	v_add_f64 v[0:1], v[18:19], v[0:1]
	v_mul_f64 v[16:17], v[198:199], s[28:29]
	v_mul_f64 v[18:19], v[202:203], s[22:23]
	v_fma_f64 v[24:25], s[10:11], v[192:193], v[22:23]
	v_add_f64 v[28:29], v[28:29], v[124:125]
	v_mul_f64 v[198:199], v[240:241], s[52:53]
	v_fma_f64 v[218:219], v[222:223], s[20:21], -v[206:207]
	v_add_f64 v[228:229], v[104:105], v[228:229]
	v_add_f64 v[8:9], v[14:15], v[0:1]
	v_mul_f64 v[0:1], v[190:191], s[36:37]
	v_fma_f64 v[20:21], s[14:15], v[188:189], v[18:19]
	v_add_f64 v[24:25], v[24:25], v[28:29]
	v_mul_f64 v[190:191], v[238:239], s[44:45]
	v_fma_f64 v[202:203], v[220:221], s[16:17], -v[198:199]
	v_add_f64 v[218:219], v[218:219], v[228:229]
	v_mul_f64 v[6:7], v[194:195], s[34:35]
	v_fma_f64 v[14:15], s[18:19], v[186:187], v[16:17]
	v_add_f64 v[20:21], v[20:21], v[24:25]
	v_mul_f64 v[178:179], v[236:237], s[22:23]
	v_fma_f64 v[194:195], v[216:217], s[10:11], -v[190:191]
	v_add_f64 v[202:203], v[202:203], v[218:219]
	v_fma_f64 v[12:13], s[24:25], v[184:185], v[6:7]
	v_add_f64 v[14:15], v[14:15], v[20:21]
	v_mul_f64 v[28:29], v[234:235], s[28:29]
	v_fma_f64 v[180:181], v[214:215], s[14:15], -v[178:179]
	v_add_f64 v[194:195], v[194:195], v[202:203]
	;; [unrolled: 5-line block ×3, first 2 shown]
	v_add_f64 v[14:15], v[2:3], v[12:13]
	v_mul_f64 v[2:3], v[230:231], s[36:37]
	v_fma_f64 v[24:25], v[210:211], s[24:25], -v[20:21]
	v_add_f64 v[124:125], v[124:125], v[180:181]
	v_fma_f64 v[12:13], v[208:209], s[30:31], -v[2:3]
	v_add_f64 v[24:25], v[24:25], v[124:125]
	v_add_f64 v[12:13], v[12:13], v[24:25]
	v_fma_f64 v[24:25], v[196:197], s[16:17], -v[26:27]
	v_fma_f64 v[26:27], v[200:201], s[20:21], -v[30:31]
	;; [unrolled: 1-line block ×3, first 2 shown]
	v_add_f64 v[30:31], v[106:107], v[30:31]
	v_add_f64 v[26:27], v[26:27], v[30:31]
	v_fma_f64 v[22:23], v[192:193], s[10:11], -v[22:23]
	v_add_f64 v[24:25], v[24:25], v[26:27]
	v_fma_f64 v[18:19], v[188:189], s[14:15], -v[18:19]
	;; [unrolled: 2-line block ×5, first 2 shown]
	v_add_f64 v[6:7], v[6:7], v[16:17]
	v_fmac_f64_e32 v[226:227], s[26:27], v[224:225]
	v_add_f64 v[18:19], v[0:1], v[6:7]
	v_fmac_f64_e32 v[206:207], s[20:21], v[222:223]
	;; [unrolled: 2-line block ×8, first 2 shown]
	v_add_f64 v[0:1], v[20:21], v[0:1]
	v_add_f64 v[16:17], v[2:3], v[0:1]
	;; [unrolled: 1-line block ×34, first 2 shown]
	v_accvgpr_read_b32 v0, a1
	v_lshl_add_u32 v0, v177, 4, v0
	v_accvgpr_read_b32 v61, a39
	v_accvgpr_read_b32 v55, a31
	;; [unrolled: 1-line block ×7, first 2 shown]
	ds_write_b128 v0, v[20:23]
	ds_write_b128 v0, v[16:19] offset:16
	ds_write_b128 v0, v[8:11] offset:32
	;; [unrolled: 1-line block ×6, first 2 shown]
	v_accvgpr_read_b32 v147, a43
	v_accvgpr_read_b32 v224, a2
	;; [unrolled: 1-line block ×28, first 2 shown]
	ds_write_b128 v0, v[136:139] offset:112
	ds_write_b128 v0, v[128:131] offset:128
	;; [unrolled: 1-line block ×4, first 2 shown]
	v_accvgpr_read_b32 v132, a4
	ds_write_b128 v0, v[140:143] offset:176
	v_accvgpr_read_b32 v142, a3
	ds_write_b128 v0, v[148:151] offset:192
	ds_write_b128 v0, v[156:159] offset:208
	;; [unrolled: 1-line block ×5, first 2 shown]
.LBB0_13:
	s_or_b64 exec, exec, s[0:1]
	s_waitcnt lgkmcnt(0)
	s_barrier
	ds_read_b128 v[8:11], v5
	ds_read_b128 v[12:15], v5 offset:816
	ds_read_b128 v[16:19], v5 offset:4896
	ds_read_b128 v[20:23], v5 offset:5712
	ds_read_b128 v[24:27], v5 offset:2448
	ds_read_b128 v[28:31], v5 offset:1632
	ds_read_b128 v[88:91], v5 offset:3264
	ds_read_b128 v[92:95], v5 offset:4080
	ds_read_b128 v[96:99], v5 offset:6528
	s_waitcnt lgkmcnt(6)
	v_mul_f64 v[6:7], v[50:51], v[18:19]
	s_waitcnt lgkmcnt(4)
	v_mul_f64 v[0:1], v[54:55], v[26:27]
	v_fmac_f64_e32 v[6:7], v[48:49], v[16:17]
	v_mul_f64 v[16:17], v[50:51], v[16:17]
	v_fmac_f64_e32 v[0:1], v[52:53], v[24:25]
	v_mul_f64 v[2:3], v[54:55], v[24:25]
	v_fma_f64 v[24:25], v[48:49], v[18:19], -v[16:17]
	s_waitcnt lgkmcnt(2)
	v_mul_f64 v[48:49], v[38:39], v[90:91]
	v_mul_f64 v[16:17], v[38:39], v[88:89]
	v_fmac_f64_e32 v[48:49], v[36:37], v[88:89]
	v_fma_f64 v[36:37], v[36:37], v[90:91], -v[16:17]
	v_mul_f64 v[16:17], v[34:35], v[20:21]
	v_mul_f64 v[38:39], v[34:35], v[22:23]
	v_fma_f64 v[34:35], v[32:33], v[22:23], -v[16:17]
	s_waitcnt lgkmcnt(1)
	v_mul_f64 v[50:51], v[46:47], v[94:95]
	v_mul_f64 v[16:17], v[46:47], v[92:93]
	v_fma_f64 v[2:3], v[52:53], v[26:27], -v[2:3]
	v_fmac_f64_e32 v[50:51], v[44:45], v[92:93]
	v_fma_f64 v[44:45], v[44:45], v[94:95], -v[16:17]
	s_waitcnt lgkmcnt(0)
	v_mul_f64 v[16:17], v[42:43], v[96:97]
	v_add_f64 v[18:19], v[0:1], v[6:7]
	s_mov_b32 s10, 0xe8584caa
	v_mul_f64 v[46:47], v[42:43], v[98:99]
	v_fma_f64 v[42:43], v[40:41], v[98:99], -v[16:17]
	v_add_f64 v[16:17], v[8:9], v[0:1]
	v_fmac_f64_e32 v[8:9], -0.5, v[18:19]
	v_add_f64 v[18:19], v[2:3], -v[24:25]
	s_mov_b32 s11, 0xbfebb67a
	s_mov_b32 s1, 0x3febb67a
	;; [unrolled: 1-line block ×3, first 2 shown]
	v_fmac_f64_e32 v[38:39], v[32:33], v[20:21]
	v_fma_f64 v[20:21], s[10:11], v[18:19], v[8:9]
	v_fmac_f64_e32 v[8:9], s[0:1], v[18:19]
	v_add_f64 v[18:19], v[10:11], v[2:3]
	v_add_f64 v[2:3], v[2:3], v[24:25]
	v_fmac_f64_e32 v[10:11], -0.5, v[2:3]
	v_add_f64 v[0:1], v[0:1], -v[6:7]
	v_fma_f64 v[22:23], s[0:1], v[0:1], v[10:11]
	v_fmac_f64_e32 v[10:11], s[10:11], v[0:1]
	v_add_f64 v[0:1], v[12:13], v[48:49]
	v_add_f64 v[18:19], v[18:19], v[24:25]
	;; [unrolled: 1-line block ×4, first 2 shown]
	v_fmac_f64_e32 v[12:13], -0.5, v[0:1]
	v_add_f64 v[0:1], v[36:37], -v[34:35]
	v_fma_f64 v[32:33], s[10:11], v[0:1], v[12:13]
	v_fmac_f64_e32 v[12:13], s[0:1], v[0:1]
	v_add_f64 v[0:1], v[14:15], v[36:37]
	v_add_f64 v[26:27], v[0:1], v[34:35]
	;; [unrolled: 1-line block ×3, first 2 shown]
	v_fmac_f64_e32 v[14:15], -0.5, v[0:1]
	v_add_f64 v[0:1], v[48:49], -v[38:39]
	v_fmac_f64_e32 v[46:47], v[40:41], v[96:97]
	v_fma_f64 v[34:35], s[0:1], v[0:1], v[14:15]
	v_fmac_f64_e32 v[14:15], s[10:11], v[0:1]
	v_add_f64 v[0:1], v[28:29], v[50:51]
	v_add_f64 v[36:37], v[0:1], v[46:47]
	v_add_f64 v[0:1], v[50:51], v[46:47]
	v_fmac_f64_e32 v[28:29], -0.5, v[0:1]
	v_add_f64 v[0:1], v[44:45], -v[42:43]
	v_fma_f64 v[40:41], s[10:11], v[0:1], v[28:29]
	v_fmac_f64_e32 v[28:29], s[0:1], v[0:1]
	v_add_f64 v[0:1], v[30:31], v[44:45]
	v_add_f64 v[38:39], v[0:1], v[42:43]
	;; [unrolled: 1-line block ×3, first 2 shown]
	v_fmac_f64_e32 v[30:31], -0.5, v[0:1]
	v_add_f64 v[0:1], v[50:51], -v[46:47]
	v_add_f64 v[16:17], v[16:17], v[6:7]
	v_fma_f64 v[42:43], s[0:1], v[0:1], v[30:31]
	v_fmac_f64_e32 v[30:31], s[10:11], v[0:1]
	s_barrier
	ds_write_b128 v142, v[16:19]
	ds_write_b128 v142, v[20:23] offset:272
	ds_write_b128 v142, v[8:11] offset:544
	ds_write_b128 v56, v[24:27]
	ds_write_b128 v56, v[32:35] offset:272
	ds_write_b128 v56, v[12:15] offset:544
	ds_write_b128 v57, v[36:39]
	ds_write_b128 v57, v[40:43] offset:272
	ds_write_b128 v57, v[28:31] offset:544
	s_waitcnt lgkmcnt(0)
	s_barrier
	ds_read_b128 v[0:3], v5
	ds_read_b128 v[8:11], v5 offset:816
	ds_read_b128 v[12:15], v5 offset:1632
	;; [unrolled: 1-line block ×8, first 2 shown]
	s_waitcnt lgkmcnt(7)
	v_mul_f64 v[6:7], v[70:71], v[10:11]
	v_fmac_f64_e32 v[6:7], v[68:69], v[8:9]
	v_mul_f64 v[8:9], v[70:71], v[8:9]
	v_fma_f64 v[8:9], v[68:69], v[10:11], -v[8:9]
	s_waitcnt lgkmcnt(6)
	v_mul_f64 v[10:11], v[66:67], v[14:15]
	v_fmac_f64_e32 v[10:11], v[64:65], v[12:13]
	v_mul_f64 v[12:13], v[66:67], v[12:13]
	v_fma_f64 v[12:13], v[64:65], v[14:15], -v[12:13]
	;; [unrolled: 5-line block ×3, first 2 shown]
	s_waitcnt lgkmcnt(4)
	v_mul_f64 v[18:19], v[60:61], v[20:21]
	v_fma_f64 v[42:43], v[58:59], v[22:23], -v[18:19]
	s_waitcnt lgkmcnt(3)
	v_mul_f64 v[18:19], v[86:87], v[24:25]
	v_mul_f64 v[40:41], v[60:61], v[22:23]
	v_fma_f64 v[46:47], v[84:85], v[26:27], -v[18:19]
	s_waitcnt lgkmcnt(2)
	v_mul_f64 v[18:19], v[82:83], v[30:31]
	v_fmac_f64_e32 v[40:41], v[58:59], v[20:21]
	v_mul_f64 v[44:45], v[86:87], v[26:27]
	v_fmac_f64_e32 v[18:19], v[80:81], v[28:29]
	v_mul_f64 v[20:21], v[82:83], v[28:29]
	s_waitcnt lgkmcnt(0)
	v_mul_f64 v[26:27], v[74:75], v[38:39]
	v_mul_f64 v[28:29], v[74:75], v[36:37]
	v_fmac_f64_e32 v[44:45], v[84:85], v[24:25]
	v_mul_f64 v[22:23], v[78:79], v[34:35]
	v_mul_f64 v[24:25], v[78:79], v[32:33]
	v_fmac_f64_e32 v[26:27], v[72:73], v[36:37]
	v_fma_f64 v[28:29], v[72:73], v[38:39], -v[28:29]
	s_mov_b32 s18, 0xa2cf5039
	v_fmac_f64_e32 v[22:23], v[76:77], v[32:33]
	v_fma_f64 v[24:25], v[76:77], v[34:35], -v[24:25]
	v_add_f64 v[36:37], v[6:7], v[26:27]
	v_add_f64 v[32:33], v[8:9], -v[28:29]
	s_mov_b32 s15, 0x3fe491b7
	s_mov_b32 s14, 0x523c161c
	;; [unrolled: 1-line block ×5, first 2 shown]
	v_fma_f64 v[20:21], v[80:81], v[30:31], -v[20:21]
	v_add_f64 v[38:39], v[8:9], v[28:29]
	v_add_f64 v[48:49], v[10:11], v[22:23]
	v_add_f64 v[52:53], v[14:15], v[18:19]
	v_add_f64 v[6:7], v[6:7], -v[26:27]
	v_add_f64 v[56:57], v[12:13], -v[24:25]
	;; [unrolled: 1-line block ×3, first 2 shown]
	v_mul_f64 v[14:15], v[32:33], s[14:15]
	s_mov_b32 s17, 0x3fef838b
	v_fma_f64 v[8:9], s[18:19], v[36:37], v[0:1]
	s_mov_b32 s21, 0x3fc63a1a
	v_add_f64 v[50:51], v[12:13], v[24:25]
	v_add_f64 v[54:55], v[16:17], v[20:21]
	v_add_f64 v[34:35], v[10:11], -v[22:23]
	v_add_f64 v[60:61], v[16:17], -v[20:21]
	v_mul_f64 v[16:17], v[6:7], s[14:15]
	v_fmac_f64_e32 v[14:15], s[16:17], v[56:57]
	s_mov_b32 s0, 0xe8584cab
	s_mov_b32 s22, 0x748a0bf8
	v_fma_f64 v[10:11], s[18:19], v[38:39], v[2:3]
	v_fmac_f64_e32 v[8:9], s[20:21], v[48:49]
	s_mov_b32 s24, 0x42522d1b
	v_fmac_f64_e32 v[16:17], s[16:17], v[34:35]
	v_fmac_f64_e32 v[14:15], s[0:1], v[60:61]
	v_add_f64 v[64:65], v[42:43], -v[46:47]
	s_mov_b32 s23, 0x3fd5e3a8
	v_fmac_f64_e32 v[10:11], s[20:21], v[50:51]
	v_fmac_f64_e32 v[8:9], -0.5, v[52:53]
	v_add_f64 v[66:67], v[40:41], v[44:45]
	s_mov_b32 s25, 0xbfee11f6
	v_fmac_f64_e32 v[16:17], s[0:1], v[58:59]
	v_add_f64 v[62:63], v[40:41], -v[44:45]
	v_fmac_f64_e32 v[14:15], s[22:23], v[64:65]
	v_fmac_f64_e32 v[10:11], -0.5, v[54:55]
	v_add_f64 v[68:69], v[42:43], v[46:47]
	v_fmac_f64_e32 v[8:9], s[24:25], v[66:67]
	v_fmac_f64_e32 v[16:17], s[22:23], v[62:63]
	;; [unrolled: 1-line block ×3, first 2 shown]
	v_add_f64 v[8:9], v[8:9], -v[14:15]
	v_add_f64 v[10:11], v[16:17], v[10:11]
	v_mov_b64_e32 v[12:13], v[8:9]
	v_fmac_f64_e32 v[12:13], 2.0, v[14:15]
	v_mov_b64_e32 v[14:15], v[10:11]
	s_mov_b32 s15, 0xbfe491b7
	v_fmac_f64_e32 v[14:15], -2.0, v[16:17]
	v_mul_f64 v[22:23], v[64:65], s[14:15]
	v_fma_f64 v[16:17], s[18:19], v[66:67], v[0:1]
	v_mul_f64 v[24:25], v[62:63], s[14:15]
	v_fmac_f64_e32 v[22:23], s[16:17], v[32:33]
	s_mov_b32 s10, s0
	v_fma_f64 v[18:19], s[18:19], v[68:69], v[2:3]
	v_fmac_f64_e32 v[16:17], s[20:21], v[36:37]
	v_fmac_f64_e32 v[24:25], s[16:17], v[6:7]
	;; [unrolled: 1-line block ×4, first 2 shown]
	v_fmac_f64_e32 v[16:17], -0.5, v[52:53]
	v_fmac_f64_e32 v[24:25], s[10:11], v[58:59]
	v_fmac_f64_e32 v[22:23], s[22:23], v[56:57]
	v_fmac_f64_e32 v[18:19], -0.5, v[54:55]
	v_fmac_f64_e32 v[16:17], s[24:25], v[48:49]
	v_fmac_f64_e32 v[24:25], s[22:23], v[34:35]
	;; [unrolled: 1-line block ×3, first 2 shown]
	v_add_f64 v[16:17], v[16:17], -v[22:23]
	v_add_f64 v[18:19], v[24:25], v[18:19]
	v_mov_b64_e32 v[20:21], v[16:17]
	v_fmac_f64_e32 v[20:21], 2.0, v[22:23]
	v_mov_b64_e32 v[22:23], v[18:19]
	v_fmac_f64_e32 v[22:23], -2.0, v[24:25]
	v_add_f64 v[24:25], v[62:63], v[6:7]
	v_add_f64 v[26:27], v[64:65], v[32:33]
	v_mul_f64 v[62:63], v[62:63], s[16:17]
	v_mul_f64 v[64:65], v[64:65], s[16:17]
	v_add_f64 v[30:31], v[26:27], -v[56:57]
	v_fma_f64 v[62:63], v[34:35], s[14:15], -v[62:63]
	v_fma_f64 v[56:57], v[56:57], s[14:15], -v[64:65]
	v_add_f64 v[74:75], v[48:49], v[36:37]
	v_add_f64 v[76:77], v[50:51], v[38:39]
	v_fmac_f64_e32 v[62:63], s[0:1], v[58:59]
	v_fmac_f64_e32 v[56:57], s[0:1], v[60:61]
	;; [unrolled: 1-line block ×4, first 2 shown]
	v_add_f64 v[6:7], v[52:53], v[74:75]
	v_add_f64 v[32:33], v[54:55], v[76:77]
	;; [unrolled: 1-line block ×4, first 2 shown]
	v_add_f64 v[28:29], v[24:25], -v[34:35]
	v_add_f64 v[6:7], v[44:45], v[6:7]
	v_add_f64 v[34:35], v[46:47], v[32:33]
	v_add_f64 v[24:25], v[0:1], v[52:53]
	v_add_f64 v[26:27], v[2:3], v[54:55]
	v_add_f64 v[32:33], v[0:1], v[6:7]
	v_add_f64 v[34:35], v[2:3], v[34:35]
	v_fmac_f64_e32 v[0:1], s[18:19], v[48:49]
	v_fmac_f64_e32 v[2:3], s[18:19], v[50:51]
	;; [unrolled: 1-line block ×4, first 2 shown]
	v_add_f64 v[78:79], v[66:67], v[74:75]
	v_add_f64 v[80:81], v[68:69], v[76:77]
	v_fmac_f64_e32 v[0:1], -0.5, v[52:53]
	v_fmac_f64_e32 v[2:3], -0.5, v[54:55]
	;; [unrolled: 1-line block ×4, first 2 shown]
	v_fmac_f64_e32 v[0:1], s[24:25], v[36:37]
	v_fmac_f64_e32 v[2:3], s[24:25], v[38:39]
	;; [unrolled: 1-line block ×4, first 2 shown]
	v_add_f64 v[0:1], v[0:1], -v[56:57]
	v_add_f64 v[2:3], v[62:63], v[2:3]
	v_mul_f64 v[70:71], v[28:29], s[0:1]
	v_mul_f64 v[72:73], v[30:31], s[0:1]
	v_mov_b64_e32 v[28:29], v[24:25]
	v_mov_b64_e32 v[30:31], v[26:27]
	;; [unrolled: 1-line block ×4, first 2 shown]
	v_fmac_f64_e32 v[28:29], 2.0, v[72:73]
	v_fmac_f64_e32 v[30:31], -2.0, v[70:71]
	v_fmac_f64_e32 v[36:37], 2.0, v[56:57]
	v_fmac_f64_e32 v[38:39], -2.0, v[62:63]
	ds_write_b128 v132, v[32:35]
	ds_write_b128 v4, v[8:11] offset:816
	ds_write_b128 v4, v[16:19] offset:1632
	;; [unrolled: 1-line block ×8, first 2 shown]
	s_and_b64 s[0:1], exec, s[2:3]
	v_accvgpr_read_b32 v24, a0
	s_waitcnt lgkmcnt(0)
	s_barrier
	s_mov_b64 exec, s[0:1]
	s_cbranch_execz .LBB0_15
; %bb.14:
	global_load_dwordx4 v[0:3], v176, s[8:9]
	v_mad_u64_u32 v[16:17], s[0:1], s6, v24, 0
	ds_read_b128 v[6:9], v132
	ds_read_b128 v[10:13], v4 offset:432
	v_mov_b32_e32 v20, v17
	v_mad_u64_u32 v[18:19], s[2:3], s4, v224, 0
	v_mad_u64_u32 v[20:21], s[2:3], s7, v24, v[20:21]
	v_mov_b32_e32 v14, s12
	v_mov_b32_e32 v15, s13
	;; [unrolled: 1-line block ×4, first 2 shown]
	s_mov_b32 s0, 0x672e4abd
	v_mad_u64_u32 v[22:23], s[2:3], s5, v224, v[22:23]
	v_lshl_add_u64 v[14:15], v[16:17], 4, v[14:15]
	s_mov_b32 s1, 0x3f61d8f5
	v_mov_b32_e32 v19, v22
	v_lshl_add_u64 v[14:15], v[18:19], 4, v[14:15]
	s_mul_i32 s2, s5, 0x1b0
	v_mov_b32_e32 v177, 0
	s_movk_i32 s3, 0x1000
	s_waitcnt vmcnt(0) lgkmcnt(1)
	v_mul_f64 v[16:17], v[8:9], v[2:3]
	v_mul_f64 v[2:3], v[6:7], v[2:3]
	v_fmac_f64_e32 v[16:17], v[6:7], v[0:1]
	v_fma_f64 v[2:3], v[0:1], v[8:9], -v[2:3]
	v_mul_f64 v[0:1], v[16:17], s[0:1]
	v_mul_f64 v[2:3], v[2:3], s[0:1]
	global_store_dwordx4 v[14:15], v[0:3], off
	global_load_dwordx4 v[6:9], v176, s[8:9] offset:432
	s_nop 0
	v_mov_b32_e32 v0, 0x1b0
	v_mad_u64_u32 v[2:3], s[6:7], s4, v0, v[14:15]
	v_add_u32_e32 v3, s2, v3
	s_waitcnt vmcnt(0) lgkmcnt(0)
	v_mul_f64 v[14:15], v[12:13], v[8:9]
	v_mul_f64 v[8:9], v[10:11], v[8:9]
	v_fmac_f64_e32 v[14:15], v[10:11], v[6:7]
	v_fma_f64 v[8:9], v[6:7], v[12:13], -v[8:9]
	v_mul_f64 v[6:7], v[14:15], s[0:1]
	v_mul_f64 v[8:9], v[8:9], s[0:1]
	global_store_dwordx4 v[2:3], v[6:9], off
	global_load_dwordx4 v[6:9], v176, s[8:9] offset:864
	ds_read_b128 v[10:13], v4 offset:864
	ds_read_b128 v[14:17], v4 offset:1296
	v_mad_u64_u32 v[2:3], s[6:7], s4, v0, v[2:3]
	v_add_u32_e32 v3, s2, v3
	s_waitcnt vmcnt(0) lgkmcnt(1)
	v_mul_f64 v[18:19], v[12:13], v[8:9]
	v_mul_f64 v[8:9], v[10:11], v[8:9]
	v_fmac_f64_e32 v[18:19], v[10:11], v[6:7]
	v_fma_f64 v[8:9], v[6:7], v[12:13], -v[8:9]
	v_mul_f64 v[6:7], v[18:19], s[0:1]
	v_mul_f64 v[8:9], v[8:9], s[0:1]
	global_store_dwordx4 v[2:3], v[6:9], off
	global_load_dwordx4 v[6:9], v176, s[8:9] offset:1296
	v_mad_u64_u32 v[2:3], s[6:7], s4, v0, v[2:3]
	v_add_u32_e32 v3, s2, v3
	s_waitcnt vmcnt(0) lgkmcnt(0)
	v_mul_f64 v[10:11], v[16:17], v[8:9]
	v_mul_f64 v[8:9], v[14:15], v[8:9]
	v_fmac_f64_e32 v[10:11], v[14:15], v[6:7]
	v_fma_f64 v[8:9], v[6:7], v[16:17], -v[8:9]
	v_mul_f64 v[6:7], v[10:11], s[0:1]
	v_mul_f64 v[8:9], v[8:9], s[0:1]
	global_store_dwordx4 v[2:3], v[6:9], off
	global_load_dwordx4 v[6:9], v176, s[8:9] offset:1728
	ds_read_b128 v[10:13], v4 offset:1728
	ds_read_b128 v[14:17], v4 offset:2160
	v_mad_u64_u32 v[2:3], s[6:7], s4, v0, v[2:3]
	v_add_u32_e32 v3, s2, v3
	s_waitcnt vmcnt(0) lgkmcnt(1)
	v_mul_f64 v[18:19], v[12:13], v[8:9]
	v_mul_f64 v[8:9], v[10:11], v[8:9]
	v_fmac_f64_e32 v[18:19], v[10:11], v[6:7]
	v_fma_f64 v[8:9], v[6:7], v[12:13], -v[8:9]
	v_mul_f64 v[6:7], v[18:19], s[0:1]
	v_mul_f64 v[8:9], v[8:9], s[0:1]
	global_store_dwordx4 v[2:3], v[6:9], off
	global_load_dwordx4 v[6:9], v176, s[8:9] offset:2160
	;; [unrolled: 24-line block ×4, first 2 shown]
	v_lshl_add_u64 v[10:11], s[8:9], 0, v[176:177]
	v_add_co_u32_e32 v18, vcc, s3, v10
	v_mad_u64_u32 v[2:3], s[6:7], s4, v0, v[2:3]
	s_nop 0
	v_addc_co_u32_e32 v19, vcc, 0, v11, vcc
	v_add_u32_e32 v3, s2, v3
	s_waitcnt vmcnt(0) lgkmcnt(0)
	v_mul_f64 v[10:11], v[16:17], v[8:9]
	v_mul_f64 v[8:9], v[14:15], v[8:9]
	v_fmac_f64_e32 v[10:11], v[14:15], v[6:7]
	v_fma_f64 v[8:9], v[6:7], v[16:17], -v[8:9]
	v_mul_f64 v[6:7], v[10:11], s[0:1]
	v_mul_f64 v[8:9], v[8:9], s[0:1]
	global_store_dwordx4 v[2:3], v[6:9], off
	global_load_dwordx4 v[6:9], v[18:19], off offset:224
	ds_read_b128 v[10:13], v4 offset:4320
	ds_read_b128 v[14:17], v4 offset:4752
	v_mad_u64_u32 v[2:3], s[6:7], s4, v0, v[2:3]
	v_add_u32_e32 v3, s2, v3
	s_waitcnt vmcnt(0) lgkmcnt(1)
	v_mul_f64 v[20:21], v[12:13], v[8:9]
	v_mul_f64 v[8:9], v[10:11], v[8:9]
	v_fmac_f64_e32 v[20:21], v[10:11], v[6:7]
	v_fma_f64 v[8:9], v[6:7], v[12:13], -v[8:9]
	v_mul_f64 v[6:7], v[20:21], s[0:1]
	v_mul_f64 v[8:9], v[8:9], s[0:1]
	global_store_dwordx4 v[2:3], v[6:9], off
	global_load_dwordx4 v[6:9], v[18:19], off offset:656
	v_mad_u64_u32 v[2:3], s[6:7], s4, v0, v[2:3]
	v_add_u32_e32 v3, s2, v3
	s_waitcnt vmcnt(0) lgkmcnt(0)
	v_mul_f64 v[10:11], v[16:17], v[8:9]
	v_mul_f64 v[8:9], v[14:15], v[8:9]
	v_fmac_f64_e32 v[10:11], v[14:15], v[6:7]
	v_fma_f64 v[8:9], v[6:7], v[16:17], -v[8:9]
	v_mul_f64 v[6:7], v[10:11], s[0:1]
	v_mul_f64 v[8:9], v[8:9], s[0:1]
	global_store_dwordx4 v[2:3], v[6:9], off
	global_load_dwordx4 v[6:9], v[18:19], off offset:1088
	ds_read_b128 v[10:13], v4 offset:5184
	ds_read_b128 v[14:17], v4 offset:5616
	v_mad_u64_u32 v[2:3], s[6:7], s4, v0, v[2:3]
	v_add_u32_e32 v3, s2, v3
	s_waitcnt vmcnt(0) lgkmcnt(1)
	v_mul_f64 v[20:21], v[12:13], v[8:9]
	v_mul_f64 v[8:9], v[10:11], v[8:9]
	v_fmac_f64_e32 v[20:21], v[10:11], v[6:7]
	v_fma_f64 v[8:9], v[6:7], v[12:13], -v[8:9]
	v_mul_f64 v[6:7], v[20:21], s[0:1]
	v_mul_f64 v[8:9], v[8:9], s[0:1]
	global_store_dwordx4 v[2:3], v[6:9], off
	global_load_dwordx4 v[6:9], v[18:19], off offset:1520
	v_mad_u64_u32 v[2:3], s[6:7], s4, v0, v[2:3]
	;; [unrolled: 24-line block ×3, first 2 shown]
	v_add_u32_e32 v11, s2, v11
	s_waitcnt vmcnt(0) lgkmcnt(0)
	v_mul_f64 v[2:3], v[16:17], v[8:9]
	v_mul_f64 v[8:9], v[14:15], v[8:9]
	v_fmac_f64_e32 v[2:3], v[14:15], v[6:7]
	v_fma_f64 v[8:9], v[6:7], v[16:17], -v[8:9]
	v_mul_f64 v[6:7], v[2:3], s[0:1]
	v_mul_f64 v[8:9], v[8:9], s[0:1]
	global_store_dwordx4 v[10:11], v[6:9], off
	global_load_dwordx4 v[6:9], v[18:19], off offset:2816
	ds_read_b128 v[2:5], v4 offset:6912
	v_mad_u64_u32 v[10:11], s[4:5], s4, v0, v[10:11]
	v_add_u32_e32 v11, s2, v11
	s_waitcnt vmcnt(0) lgkmcnt(0)
	v_mul_f64 v[0:1], v[4:5], v[8:9]
	v_mul_f64 v[8:9], v[2:3], v[8:9]
	v_fmac_f64_e32 v[0:1], v[2:3], v[6:7]
	v_fma_f64 v[2:3], v[6:7], v[4:5], -v[8:9]
	v_mul_f64 v[0:1], v[0:1], s[0:1]
	v_mul_f64 v[2:3], v[2:3], s[0:1]
	global_store_dwordx4 v[10:11], v[0:3], off
.LBB0_15:
	s_endpgm
	.section	.rodata,"a",@progbits
	.p2align	6, 0x0
	.amdhsa_kernel bluestein_single_fwd_len459_dim1_dp_op_CI_CI
		.amdhsa_group_segment_fixed_size 36720
		.amdhsa_private_segment_fixed_size 0
		.amdhsa_kernarg_size 104
		.amdhsa_user_sgpr_count 2
		.amdhsa_user_sgpr_dispatch_ptr 0
		.amdhsa_user_sgpr_queue_ptr 0
		.amdhsa_user_sgpr_kernarg_segment_ptr 1
		.amdhsa_user_sgpr_dispatch_id 0
		.amdhsa_user_sgpr_kernarg_preload_length 0
		.amdhsa_user_sgpr_kernarg_preload_offset 0
		.amdhsa_user_sgpr_private_segment_size 0
		.amdhsa_uses_dynamic_stack 0
		.amdhsa_enable_private_segment 0
		.amdhsa_system_sgpr_workgroup_id_x 1
		.amdhsa_system_sgpr_workgroup_id_y 0
		.amdhsa_system_sgpr_workgroup_id_z 0
		.amdhsa_system_sgpr_workgroup_info 0
		.amdhsa_system_vgpr_workitem_id 0
		.amdhsa_next_free_vgpr 406
		.amdhsa_next_free_sgpr 60
		.amdhsa_accum_offset 256
		.amdhsa_reserve_vcc 1
		.amdhsa_float_round_mode_32 0
		.amdhsa_float_round_mode_16_64 0
		.amdhsa_float_denorm_mode_32 3
		.amdhsa_float_denorm_mode_16_64 3
		.amdhsa_dx10_clamp 1
		.amdhsa_ieee_mode 1
		.amdhsa_fp16_overflow 0
		.amdhsa_tg_split 0
		.amdhsa_exception_fp_ieee_invalid_op 0
		.amdhsa_exception_fp_denorm_src 0
		.amdhsa_exception_fp_ieee_div_zero 0
		.amdhsa_exception_fp_ieee_overflow 0
		.amdhsa_exception_fp_ieee_underflow 0
		.amdhsa_exception_fp_ieee_inexact 0
		.amdhsa_exception_int_div_zero 0
	.end_amdhsa_kernel
	.text
.Lfunc_end0:
	.size	bluestein_single_fwd_len459_dim1_dp_op_CI_CI, .Lfunc_end0-bluestein_single_fwd_len459_dim1_dp_op_CI_CI
                                        ; -- End function
	.section	.AMDGPU.csdata,"",@progbits
; Kernel info:
; codeLenInByte = 24532
; NumSgprs: 66
; NumVgprs: 256
; NumAgprs: 150
; TotalNumVgprs: 406
; ScratchSize: 0
; MemoryBound: 0
; FloatMode: 240
; IeeeMode: 1
; LDSByteSize: 36720 bytes/workgroup (compile time only)
; SGPRBlocks: 8
; VGPRBlocks: 50
; NumSGPRsForWavesPerEU: 66
; NumVGPRsForWavesPerEU: 406
; AccumOffset: 256
; Occupancy: 1
; WaveLimiterHint : 1
; COMPUTE_PGM_RSRC2:SCRATCH_EN: 0
; COMPUTE_PGM_RSRC2:USER_SGPR: 2
; COMPUTE_PGM_RSRC2:TRAP_HANDLER: 0
; COMPUTE_PGM_RSRC2:TGID_X_EN: 1
; COMPUTE_PGM_RSRC2:TGID_Y_EN: 0
; COMPUTE_PGM_RSRC2:TGID_Z_EN: 0
; COMPUTE_PGM_RSRC2:TIDIG_COMP_CNT: 0
; COMPUTE_PGM_RSRC3_GFX90A:ACCUM_OFFSET: 63
; COMPUTE_PGM_RSRC3_GFX90A:TG_SPLIT: 0
	.text
	.p2alignl 6, 3212836864
	.fill 256, 4, 3212836864
	.type	__hip_cuid_9f21fc53f87fa941,@object ; @__hip_cuid_9f21fc53f87fa941
	.section	.bss,"aw",@nobits
	.globl	__hip_cuid_9f21fc53f87fa941
__hip_cuid_9f21fc53f87fa941:
	.byte	0                               ; 0x0
	.size	__hip_cuid_9f21fc53f87fa941, 1

	.ident	"AMD clang version 19.0.0git (https://github.com/RadeonOpenCompute/llvm-project roc-6.4.0 25133 c7fe45cf4b819c5991fe208aaa96edf142730f1d)"
	.section	".note.GNU-stack","",@progbits
	.addrsig
	.addrsig_sym __hip_cuid_9f21fc53f87fa941
	.amdgpu_metadata
---
amdhsa.kernels:
  - .agpr_count:     150
    .args:
      - .actual_access:  read_only
        .address_space:  global
        .offset:         0
        .size:           8
        .value_kind:     global_buffer
      - .actual_access:  read_only
        .address_space:  global
        .offset:         8
        .size:           8
        .value_kind:     global_buffer
      - .actual_access:  read_only
        .address_space:  global
        .offset:         16
        .size:           8
        .value_kind:     global_buffer
      - .actual_access:  read_only
        .address_space:  global
        .offset:         24
        .size:           8
        .value_kind:     global_buffer
      - .actual_access:  read_only
        .address_space:  global
        .offset:         32
        .size:           8
        .value_kind:     global_buffer
      - .offset:         40
        .size:           8
        .value_kind:     by_value
      - .address_space:  global
        .offset:         48
        .size:           8
        .value_kind:     global_buffer
      - .address_space:  global
        .offset:         56
        .size:           8
        .value_kind:     global_buffer
      - .address_space:  global
        .offset:         64
        .size:           8
        .value_kind:     global_buffer
      - .address_space:  global
        .offset:         72
        .size:           8
        .value_kind:     global_buffer
      - .offset:         80
        .size:           4
        .value_kind:     by_value
      - .address_space:  global
        .offset:         88
        .size:           8
        .value_kind:     global_buffer
      - .address_space:  global
        .offset:         96
        .size:           8
        .value_kind:     global_buffer
    .group_segment_fixed_size: 36720
    .kernarg_segment_align: 8
    .kernarg_segment_size: 104
    .language:       OpenCL C
    .language_version:
      - 2
      - 0
    .max_flat_workgroup_size: 255
    .name:           bluestein_single_fwd_len459_dim1_dp_op_CI_CI
    .private_segment_fixed_size: 0
    .sgpr_count:     66
    .sgpr_spill_count: 0
    .symbol:         bluestein_single_fwd_len459_dim1_dp_op_CI_CI.kd
    .uniform_work_group_size: 1
    .uses_dynamic_stack: false
    .vgpr_count:     406
    .vgpr_spill_count: 0
    .wavefront_size: 64
amdhsa.target:   amdgcn-amd-amdhsa--gfx950
amdhsa.version:
  - 1
  - 2
...

	.end_amdgpu_metadata
